;; amdgpu-corpus repo=ROCm/rocFFT kind=compiled arch=gfx1030 opt=O3
	.text
	.amdgcn_target "amdgcn-amd-amdhsa--gfx1030"
	.amdhsa_code_object_version 6
	.protected	fft_rtc_fwd_len2160_factors_10_6_6_6_wgs_60_tpt_60_halfLds_dp_ip_CI_unitstride_sbrr_dirReg ; -- Begin function fft_rtc_fwd_len2160_factors_10_6_6_6_wgs_60_tpt_60_halfLds_dp_ip_CI_unitstride_sbrr_dirReg
	.globl	fft_rtc_fwd_len2160_factors_10_6_6_6_wgs_60_tpt_60_halfLds_dp_ip_CI_unitstride_sbrr_dirReg
	.p2align	8
	.type	fft_rtc_fwd_len2160_factors_10_6_6_6_wgs_60_tpt_60_halfLds_dp_ip_CI_unitstride_sbrr_dirReg,@function
fft_rtc_fwd_len2160_factors_10_6_6_6_wgs_60_tpt_60_halfLds_dp_ip_CI_unitstride_sbrr_dirReg: ; @fft_rtc_fwd_len2160_factors_10_6_6_6_wgs_60_tpt_60_halfLds_dp_ip_CI_unitstride_sbrr_dirReg
; %bb.0:
	s_clause 0x2
	s_load_dwordx4 s[8:11], s[4:5], 0x0
	s_load_dwordx2 s[2:3], s[4:5], 0x50
	s_load_dwordx2 s[12:13], s[4:5], 0x18
	v_mul_u32_u24_e32 v1, 0x445, v0
	v_mov_b32_e32 v3, 0
	v_add_nc_u32_sdwa v5, s6, v1 dst_sel:DWORD dst_unused:UNUSED_PAD src0_sel:DWORD src1_sel:WORD_1
	v_mov_b32_e32 v1, 0
	v_mov_b32_e32 v6, v3
	v_mov_b32_e32 v2, 0
	s_waitcnt lgkmcnt(0)
	v_cmp_lt_u64_e64 s0, s[10:11], 2
	s_and_b32 vcc_lo, exec_lo, s0
	s_cbranch_vccnz .LBB0_8
; %bb.1:
	s_load_dwordx2 s[0:1], s[4:5], 0x10
	v_mov_b32_e32 v1, 0
	s_add_u32 s6, s12, 8
	v_mov_b32_e32 v2, 0
	s_addc_u32 s7, s13, 0
	s_mov_b64 s[16:17], 1
	s_waitcnt lgkmcnt(0)
	s_add_u32 s14, s0, 8
	s_addc_u32 s15, s1, 0
.LBB0_2:                                ; =>This Inner Loop Header: Depth=1
	s_load_dwordx2 s[18:19], s[14:15], 0x0
                                        ; implicit-def: $vgpr7_vgpr8
	s_mov_b32 s0, exec_lo
	s_waitcnt lgkmcnt(0)
	v_or_b32_e32 v4, s19, v6
	v_cmpx_ne_u64_e32 0, v[3:4]
	s_xor_b32 s1, exec_lo, s0
	s_cbranch_execz .LBB0_4
; %bb.3:                                ;   in Loop: Header=BB0_2 Depth=1
	v_cvt_f32_u32_e32 v4, s18
	v_cvt_f32_u32_e32 v7, s19
	s_sub_u32 s0, 0, s18
	s_subb_u32 s20, 0, s19
	v_fmac_f32_e32 v4, 0x4f800000, v7
	v_rcp_f32_e32 v4, v4
	v_mul_f32_e32 v4, 0x5f7ffffc, v4
	v_mul_f32_e32 v7, 0x2f800000, v4
	v_trunc_f32_e32 v7, v7
	v_fmac_f32_e32 v4, 0xcf800000, v7
	v_cvt_u32_f32_e32 v7, v7
	v_cvt_u32_f32_e32 v4, v4
	v_mul_lo_u32 v8, s0, v7
	v_mul_hi_u32 v9, s0, v4
	v_mul_lo_u32 v10, s20, v4
	v_add_nc_u32_e32 v8, v9, v8
	v_mul_lo_u32 v9, s0, v4
	v_add_nc_u32_e32 v8, v8, v10
	v_mul_hi_u32 v10, v4, v9
	v_mul_lo_u32 v11, v4, v8
	v_mul_hi_u32 v12, v4, v8
	v_mul_hi_u32 v13, v7, v9
	v_mul_lo_u32 v9, v7, v9
	v_mul_hi_u32 v14, v7, v8
	v_mul_lo_u32 v8, v7, v8
	v_add_co_u32 v10, vcc_lo, v10, v11
	v_add_co_ci_u32_e32 v11, vcc_lo, 0, v12, vcc_lo
	v_add_co_u32 v9, vcc_lo, v10, v9
	v_add_co_ci_u32_e32 v9, vcc_lo, v11, v13, vcc_lo
	v_add_co_ci_u32_e32 v10, vcc_lo, 0, v14, vcc_lo
	v_add_co_u32 v8, vcc_lo, v9, v8
	v_add_co_ci_u32_e32 v9, vcc_lo, 0, v10, vcc_lo
	v_add_co_u32 v4, vcc_lo, v4, v8
	v_add_co_ci_u32_e32 v7, vcc_lo, v7, v9, vcc_lo
	v_mul_hi_u32 v8, s0, v4
	v_mul_lo_u32 v10, s20, v4
	v_mul_lo_u32 v9, s0, v7
	v_add_nc_u32_e32 v8, v8, v9
	v_mul_lo_u32 v9, s0, v4
	v_add_nc_u32_e32 v8, v8, v10
	v_mul_hi_u32 v10, v4, v9
	v_mul_lo_u32 v11, v4, v8
	v_mul_hi_u32 v12, v4, v8
	v_mul_hi_u32 v13, v7, v9
	v_mul_lo_u32 v9, v7, v9
	v_mul_hi_u32 v14, v7, v8
	v_mul_lo_u32 v8, v7, v8
	v_add_co_u32 v10, vcc_lo, v10, v11
	v_add_co_ci_u32_e32 v11, vcc_lo, 0, v12, vcc_lo
	v_add_co_u32 v9, vcc_lo, v10, v9
	v_add_co_ci_u32_e32 v9, vcc_lo, v11, v13, vcc_lo
	v_add_co_ci_u32_e32 v10, vcc_lo, 0, v14, vcc_lo
	v_add_co_u32 v8, vcc_lo, v9, v8
	v_add_co_ci_u32_e32 v9, vcc_lo, 0, v10, vcc_lo
	v_add_co_u32 v4, vcc_lo, v4, v8
	v_add_co_ci_u32_e32 v11, vcc_lo, v7, v9, vcc_lo
	v_mul_hi_u32 v13, v5, v4
	v_mad_u64_u32 v[9:10], null, v6, v4, 0
	v_mad_u64_u32 v[7:8], null, v5, v11, 0
	;; [unrolled: 1-line block ×3, first 2 shown]
	v_add_co_u32 v4, vcc_lo, v13, v7
	v_add_co_ci_u32_e32 v7, vcc_lo, 0, v8, vcc_lo
	v_add_co_u32 v4, vcc_lo, v4, v9
	v_add_co_ci_u32_e32 v4, vcc_lo, v7, v10, vcc_lo
	v_add_co_ci_u32_e32 v7, vcc_lo, 0, v12, vcc_lo
	v_add_co_u32 v4, vcc_lo, v4, v11
	v_add_co_ci_u32_e32 v9, vcc_lo, 0, v7, vcc_lo
	v_mul_lo_u32 v10, s19, v4
	v_mad_u64_u32 v[7:8], null, s18, v4, 0
	v_mul_lo_u32 v11, s18, v9
	v_sub_co_u32 v7, vcc_lo, v5, v7
	v_add3_u32 v8, v8, v11, v10
	v_sub_nc_u32_e32 v10, v6, v8
	v_subrev_co_ci_u32_e64 v10, s0, s19, v10, vcc_lo
	v_add_co_u32 v11, s0, v4, 2
	v_add_co_ci_u32_e64 v12, s0, 0, v9, s0
	v_sub_co_u32 v13, s0, v7, s18
	v_sub_co_ci_u32_e32 v8, vcc_lo, v6, v8, vcc_lo
	v_subrev_co_ci_u32_e64 v10, s0, 0, v10, s0
	v_cmp_le_u32_e32 vcc_lo, s18, v13
	v_cmp_eq_u32_e64 s0, s19, v8
	v_cndmask_b32_e64 v13, 0, -1, vcc_lo
	v_cmp_le_u32_e32 vcc_lo, s19, v10
	v_cndmask_b32_e64 v14, 0, -1, vcc_lo
	v_cmp_le_u32_e32 vcc_lo, s18, v7
	;; [unrolled: 2-line block ×3, first 2 shown]
	v_cndmask_b32_e64 v15, 0, -1, vcc_lo
	v_cmp_eq_u32_e32 vcc_lo, s19, v10
	v_cndmask_b32_e64 v7, v15, v7, s0
	v_cndmask_b32_e32 v10, v14, v13, vcc_lo
	v_add_co_u32 v13, vcc_lo, v4, 1
	v_add_co_ci_u32_e32 v14, vcc_lo, 0, v9, vcc_lo
	v_cmp_ne_u32_e32 vcc_lo, 0, v10
	v_cndmask_b32_e32 v8, v14, v12, vcc_lo
	v_cndmask_b32_e32 v10, v13, v11, vcc_lo
	v_cmp_ne_u32_e32 vcc_lo, 0, v7
	v_cndmask_b32_e32 v8, v9, v8, vcc_lo
	v_cndmask_b32_e32 v7, v4, v10, vcc_lo
.LBB0_4:                                ;   in Loop: Header=BB0_2 Depth=1
	s_andn2_saveexec_b32 s0, s1
	s_cbranch_execz .LBB0_6
; %bb.5:                                ;   in Loop: Header=BB0_2 Depth=1
	v_cvt_f32_u32_e32 v4, s18
	s_sub_i32 s1, 0, s18
	v_rcp_iflag_f32_e32 v4, v4
	v_mul_f32_e32 v4, 0x4f7ffffe, v4
	v_cvt_u32_f32_e32 v4, v4
	v_mul_lo_u32 v7, s1, v4
	v_mul_hi_u32 v7, v4, v7
	v_add_nc_u32_e32 v4, v4, v7
	v_mul_hi_u32 v4, v5, v4
	v_mul_lo_u32 v7, v4, s18
	v_add_nc_u32_e32 v8, 1, v4
	v_sub_nc_u32_e32 v7, v5, v7
	v_subrev_nc_u32_e32 v9, s18, v7
	v_cmp_le_u32_e32 vcc_lo, s18, v7
	v_cndmask_b32_e32 v7, v7, v9, vcc_lo
	v_cndmask_b32_e32 v4, v4, v8, vcc_lo
	v_cmp_le_u32_e32 vcc_lo, s18, v7
	v_add_nc_u32_e32 v8, 1, v4
	v_cndmask_b32_e32 v7, v4, v8, vcc_lo
	v_mov_b32_e32 v8, v3
.LBB0_6:                                ;   in Loop: Header=BB0_2 Depth=1
	s_or_b32 exec_lo, exec_lo, s0
	s_load_dwordx2 s[0:1], s[6:7], 0x0
	v_mul_lo_u32 v4, v8, s18
	v_mul_lo_u32 v11, v7, s19
	v_mad_u64_u32 v[9:10], null, v7, s18, 0
	s_add_u32 s16, s16, 1
	s_addc_u32 s17, s17, 0
	s_add_u32 s6, s6, 8
	s_addc_u32 s7, s7, 0
	;; [unrolled: 2-line block ×3, first 2 shown]
	v_add3_u32 v4, v10, v11, v4
	v_sub_co_u32 v5, vcc_lo, v5, v9
	v_sub_co_ci_u32_e32 v4, vcc_lo, v6, v4, vcc_lo
	s_waitcnt lgkmcnt(0)
	v_mul_lo_u32 v6, s1, v5
	v_mul_lo_u32 v4, s0, v4
	v_mad_u64_u32 v[1:2], null, s0, v5, v[1:2]
	v_cmp_ge_u64_e64 s0, s[16:17], s[10:11]
	s_and_b32 vcc_lo, exec_lo, s0
	v_add3_u32 v2, v6, v2, v4
	s_cbranch_vccnz .LBB0_9
; %bb.7:                                ;   in Loop: Header=BB0_2 Depth=1
	v_mov_b32_e32 v5, v7
	v_mov_b32_e32 v6, v8
	s_branch .LBB0_2
.LBB0_8:
	v_mov_b32_e32 v8, v6
	v_mov_b32_e32 v7, v5
.LBB0_9:
	s_lshl_b64 s[0:1], s[10:11], 3
	v_mul_hi_u32 v5, 0x4444445, v0
	s_add_u32 s0, s12, s0
	s_addc_u32 s1, s13, s1
                                        ; implicit-def: $vgpr34_vgpr35
                                        ; implicit-def: $vgpr18_vgpr19
                                        ; implicit-def: $vgpr14_vgpr15
                                        ; implicit-def: $vgpr10_vgpr11
                                        ; implicit-def: $vgpr38_vgpr39
                                        ; implicit-def: $vgpr26_vgpr27
                                        ; implicit-def: $vgpr22_vgpr23
                                        ; implicit-def: $vgpr30_vgpr31
                                        ; implicit-def: $vgpr62_vgpr63
                                        ; implicit-def: $vgpr66_vgpr67
                                        ; implicit-def: $vgpr58_vgpr59
                                        ; implicit-def: $vgpr74_vgpr75
                                        ; implicit-def: $vgpr90_vgpr91
                                        ; implicit-def: $vgpr54_vgpr55
                                        ; implicit-def: $vgpr126_vgpr127
                                        ; implicit-def: $vgpr130_vgpr131
                                        ; implicit-def: $vgpr78_vgpr79
                                        ; implicit-def: $vgpr106_vgpr107
                                        ; implicit-def: $vgpr42_vgpr43
                                        ; implicit-def: $vgpr82_vgpr83
                                        ; implicit-def: $vgpr86_vgpr87
                                        ; implicit-def: $vgpr102_vgpr103
                                        ; implicit-def: $vgpr114_vgpr115
                                        ; implicit-def: $vgpr70_vgpr71
                                        ; implicit-def: $vgpr94_vgpr95
                                        ; implicit-def: $vgpr150_vgpr151
                                        ; implicit-def: $vgpr134_vgpr135
                                        ; implicit-def: $vgpr46_vgpr47
                                        ; implicit-def: $vgpr50_vgpr51
                                        ; implicit-def: $vgpr98_vgpr99
                                        ; implicit-def: $vgpr118_vgpr119
                                        ; implicit-def: $vgpr122_vgpr123
                                        ; implicit-def: $vgpr142_vgpr143
                                        ; implicit-def: $vgpr146_vgpr147
                                        ; implicit-def: $vgpr138_vgpr139
                                        ; implicit-def: $vgpr158_vgpr159
                                        ; implicit-def: $vgpr154_vgpr155
                                        ; implicit-def: $vgpr110_vgpr111
	s_load_dwordx2 s[0:1], s[0:1], 0x0
	s_load_dwordx2 s[4:5], s[4:5], 0x20
	s_waitcnt lgkmcnt(0)
	v_mul_lo_u32 v3, s0, v8
	v_mul_lo_u32 v4, s1, v7
	v_mad_u64_u32 v[1:2], null, s0, v7, v[1:2]
	v_cmp_gt_u64_e32 vcc_lo, s[4:5], v[7:8]
                                        ; implicit-def: $vgpr6_vgpr7
	v_add3_u32 v2, v4, v2, v3
	v_mul_u32_u24_e32 v3, 60, v5
	v_lshlrev_b64 v[162:163], 4, v[1:2]
	v_sub_nc_u32_e32 v160, v0, v3
                                        ; implicit-def: $vgpr2_vgpr3
	s_and_saveexec_b32 s1, vcc_lo
	s_cbranch_execz .LBB0_13
; %bb.10:
	v_mov_b32_e32 v161, 0
	v_add_co_u32 v26, s0, s2, v162
	v_add_co_ci_u32_e64 v27, s0, s3, v163, s0
	v_lshlrev_b64 v[0:1], 4, v[160:161]
	v_or_b32_e32 v8, 0x6c0, v160
	v_mov_b32_e32 v9, v161
	v_or_b32_e32 v24, 0x300, v160
	v_mov_b32_e32 v25, v161
	s_mov_b32 s4, exec_lo
	v_add_co_u32 v0, s0, v26, v0
	v_add_co_ci_u32_e64 v1, s0, v27, v1, s0
	v_lshlrev_b64 v[8:9], 4, v[8:9]
	v_add_co_u32 v2, s0, 0x800, v0
	v_add_co_ci_u32_e64 v3, s0, 0, v1, s0
	v_add_co_u32 v6, s0, 0x1800, v0
	v_add_co_ci_u32_e64 v7, s0, 0, v1, s0
	;; [unrolled: 2-line block ×10, first 2 shown]
	s_clause 0x3
	global_load_dwordx4 v[108:111], v[0:1], off
	global_load_dwordx4 v[44:47], v[0:1], off offset:960
	global_load_dwordx4 v[136:139], v[4:5], off offset:128
	;; [unrolled: 1-line block ×3, first 2 shown]
	v_add_co_u32 v4, s0, 0x3800, v0
	v_add_co_ci_u32_e64 v5, s0, 0, v1, s0
	v_add_co_u32 v22, s0, 0x6000, v0
	v_lshlrev_b64 v[24:25], 4, v[24:25]
	v_add_co_ci_u32_e64 v23, s0, 0, v1, s0
	v_add_co_u32 v34, s0, 0x6800, v0
	v_add_co_ci_u32_e64 v35, s0, 0, v1, s0
	s_clause 0x3
	global_load_dwordx4 v[48:51], v[16:17], off offset:384
	global_load_dwordx4 v[40:43], v[16:17], off offset:1344
	;; [unrolled: 1-line block ×4, first 2 shown]
	v_add_co_u32 v16, s0, v26, v24
	v_add_co_ci_u32_e64 v17, s0, v27, v25, s0
	v_add_co_u32 v30, s0, 0x2000, v0
	v_add_co_ci_u32_e64 v31, s0, 0, v1, s0
	;; [unrolled: 2-line block ×4, first 2 shown]
	v_add_co_u32 v164, s0, 0x8000, v0
	s_clause 0x1
	global_load_dwordx4 v[68:71], v[4:5], off offset:448
	global_load_dwordx4 v[52:55], v[4:5], off offset:1408
	v_add_co_ci_u32_e64 v165, s0, 0, v1, s0
	s_clause 0x13
	global_load_dwordx4 v[84:87], v[22:23], off offset:576
	global_load_dwordx4 v[56:59], v[22:23], off offset:1536
	;; [unrolled: 1-line block ×4, first 2 shown]
	global_load_dwordx4 v[96:99], v[8:9], off
	global_load_dwordx4 v[116:119], v[14:15], off offset:1664
	global_load_dwordx4 v[144:147], v[10:11], off offset:1536
	;; [unrolled: 1-line block ×9, first 2 shown]
	global_load_dwordx4 v[124:127], v[16:17], off
	global_load_dwordx4 v[88:91], v[38:39], off offset:768
	global_load_dwordx4 v[100:103], v[12:13], off offset:1216
	global_load_dwordx4 v[72:75], v[14:15], off offset:128
	global_load_dwordx4 v[64:67], v[166:167], off offset:896
	global_load_dwordx4 v[60:63], v[164:165], off offset:256
                                        ; implicit-def: $vgpr0_vgpr1
                                        ; implicit-def: $vgpr4_vgpr5
                                        ; implicit-def: $vgpr28_vgpr29
                                        ; implicit-def: $vgpr20_vgpr21
                                        ; implicit-def: $vgpr24_vgpr25
                                        ; implicit-def: $vgpr36_vgpr37
                                        ; implicit-def: $vgpr8_vgpr9
                                        ; implicit-def: $vgpr12_vgpr13
                                        ; implicit-def: $vgpr16_vgpr17
                                        ; implicit-def: $vgpr32_vgpr33
	v_cmpx_gt_u32_e32 36, v160
; %bb.11:
	s_clause 0x9
	global_load_dwordx4 v[0:3], v[2:3], off offset:832
	global_load_dwordx4 v[4:7], v[6:7], off offset:192
	;; [unrolled: 1-line block ×10, first 2 shown]
; %bb.12:
	s_or_b32 exec_lo, exec_lo, s4
.LBB0_13:
	s_or_b32 exec_lo, exec_lo, s1
	s_waitcnt vmcnt(25)
	v_add_f64 v[164:165], v[48:49], v[136:137]
	s_waitcnt vmcnt(12)
	v_add_f64 v[166:167], v[116:117], v[140:141]
	v_add_f64 v[168:169], v[118:119], v[142:143]
	v_add_f64 v[174:175], v[142:143], -v[118:119]
	v_add_f64 v[180:181], v[138:139], -v[50:51]
	v_add_f64 v[186:187], v[50:51], v[138:139]
	s_waitcnt vmcnt(9)
	v_add_f64 v[194:195], v[120:121], v[144:145]
	s_mov_b32 s4, 0x134454ff
	s_mov_b32 s5, 0x3fee6f0e
	;; [unrolled: 1-line block ×4, first 2 shown]
	v_add_f64 v[170:171], v[136:137], -v[140:141]
	v_add_f64 v[172:173], v[48:49], -v[116:117]
	;; [unrolled: 1-line block ×11, first 2 shown]
	v_fma_f64 v[164:165], v[164:165], -0.5, v[152:153]
	v_fma_f64 v[166:167], v[166:167], -0.5, v[152:153]
	v_add_f64 v[200:201], v[144:145], -v[156:157]
	v_add_f64 v[202:203], v[120:121], -v[96:97]
	v_add_f64 v[204:205], v[140:141], -v[116:117]
	v_add_f64 v[206:207], v[158:159], -v[98:99]
	v_add_f64 v[208:209], v[96:97], v[156:157]
	v_add_f64 v[212:213], v[156:157], v[108:109]
	v_fma_f64 v[168:169], v[168:169], -0.5, v[154:155]
	v_add_f64 v[136:137], v[136:137], v[152:153]
	v_fma_f64 v[152:153], v[186:187], -0.5, v[154:155]
	v_fma_f64 v[186:187], v[194:195], -0.5, v[108:109]
	s_waitcnt vmcnt(8)
	v_add_f64 v[226:227], v[84:85], v[112:113]
	v_add_f64 v[228:229], v[40:41], v[92:93]
	s_mov_b32 s12, 0x4755a5e
	s_mov_b32 s13, 0x3fe2cf23
	;; [unrolled: 1-line block ×4, first 2 shown]
	v_add_f64 v[210:211], v[146:147], -v[122:123]
	v_add_f64 v[230:231], v[94:95], -v[42:43]
	;; [unrolled: 1-line block ×3, first 2 shown]
	v_add_f64 v[170:171], v[172:173], v[170:171]
	v_fma_f64 v[214:215], v[174:175], s[6:7], v[164:165]
	v_fma_f64 v[164:165], v[174:175], s[4:5], v[164:165]
	;; [unrolled: 1-line block ×4, first 2 shown]
	v_add_f64 v[172:173], v[178:179], v[176:177]
	v_add_f64 v[234:235], v[86:87], v[114:115]
	v_fma_f64 v[108:109], v[208:209], -0.5, v[108:109]
	v_add_f64 v[236:237], v[42:43], v[94:95]
	v_fma_f64 v[176:177], v[192:193], s[6:7], v[168:169]
	v_fma_f64 v[168:169], v[192:193], s[4:5], v[168:169]
	;; [unrolled: 1-line block ×6, first 2 shown]
	v_add_f64 v[182:183], v[184:185], v[182:183]
	v_add_f64 v[184:185], v[190:191], v[188:189]
	v_add_f64 v[188:189], v[198:199], v[196:197]
	v_add_f64 v[190:191], v[144:145], v[212:213]
	v_add_f64 v[140:141], v[140:141], v[136:137]
	v_fma_f64 v[196:197], v[226:227], -0.5, v[132:133]
	v_add_f64 v[198:199], v[202:203], v[200:201]
	v_fma_f64 v[200:201], v[228:229], -0.5, v[132:133]
	v_fma_f64 v[214:215], v[180:181], s[12:13], v[214:215]
	v_fma_f64 v[180:181], v[180:181], s[10:11], v[164:165]
	;; [unrolled: 1-line block ×4, first 2 shown]
	s_mov_b32 s14, 0x372fe950
	s_mov_b32 s15, 0x3fd3c6ef
	v_add_f64 v[194:195], v[92:93], -v[112:113]
	v_add_f64 v[218:219], v[40:41], -v[84:85]
	;; [unrolled: 1-line block ×3, first 2 shown]
	s_waitcnt vmcnt(3)
	v_add_f64 v[222:223], v[100:101], v[68:69]
	v_add_f64 v[224:225], v[80:81], v[148:149]
	v_fma_f64 v[202:203], v[210:211], s[6:7], v[108:109]
	v_fma_f64 v[212:213], v[210:211], s[4:5], v[108:109]
	;; [unrolled: 1-line block ×8, first 2 shown]
	v_fma_f64 v[204:205], v[236:237], -0.5, v[134:135]
	v_add_f64 v[208:209], v[112:113], -v[84:85]
	v_fma_f64 v[210:211], v[232:233], s[6:7], v[200:201]
	v_fma_f64 v[164:165], v[172:173], s[14:15], v[214:215]
	;; [unrolled: 1-line block ×5, first 2 shown]
	v_add_f64 v[170:171], v[84:85], -v[40:41]
	v_fma_f64 v[172:173], v[234:235], -0.5, v[134:135]
	v_add_f64 v[174:175], v[92:93], -v[40:41]
	v_add_f64 v[180:181], v[120:121], v[190:191]
	v_add_f64 v[190:191], v[116:117], v[140:141]
	v_fma_f64 v[140:141], v[230:231], s[4:5], v[196:197]
	v_fma_f64 v[200:201], v[232:233], s[4:5], v[200:201]
	;; [unrolled: 1-line block ×7, first 2 shown]
	v_add_f64 v[176:177], v[218:219], v[194:195]
	v_add_f64 v[182:183], v[94:95], -v[114:115]
	v_add_f64 v[194:195], v[42:43], -v[86:87]
	v_fma_f64 v[212:213], v[222:223], -0.5, v[44:45]
	v_fma_f64 v[214:215], v[224:225], -0.5, v[44:45]
	v_add_f64 v[216:217], v[150:151], -v[82:83]
	v_add_f64 v[218:219], v[70:71], -v[102:103]
	v_add_f64 v[224:225], v[114:115], -v[94:95]
	v_add_f64 v[44:45], v[148:149], v[44:45]
	v_add_f64 v[226:227], v[86:87], -v[42:43]
	v_add_f64 v[220:221], v[170:171], v[220:221]
	v_add_f64 v[132:133], v[92:93], v[132:133]
	v_fma_f64 v[222:223], v[174:175], s[6:7], v[172:173]
	v_fma_f64 v[228:229], v[208:209], s[4:5], v[204:205]
	;; [unrolled: 1-line block ×8, first 2 shown]
	v_add_f64 v[152:153], v[148:149], -v[68:69]
	v_add_f64 v[184:185], v[80:81], -v[100:101]
	v_fma_f64 v[196:197], v[232:233], s[10:11], v[196:197]
	v_fma_f64 v[172:173], v[174:175], s[4:5], v[172:173]
	s_mov_b32 s16, 0x9b97f4a8
	s_mov_b32 s17, 0x3fe9e377
	v_add_f64 v[230:231], v[68:69], -v[148:149]
	v_mul_f64 v[178:179], v[166:167], s[16:17]
	v_add_f64 v[234:235], v[100:101], -v[80:81]
	v_add_f64 v[182:183], v[194:195], v[182:183]
	v_fma_f64 v[194:195], v[216:217], s[4:5], v[212:213]
	v_fma_f64 v[236:237], v[218:219], s[6:7], v[214:215]
	;; [unrolled: 1-line block ×3, first 2 shown]
	v_add_f64 v[232:233], v[68:69], v[44:45]
	v_fma_f64 v[222:223], v[208:209], s[10:11], v[222:223]
	v_add_f64 v[224:225], v[226:227], v[224:225]
	v_add_f64 v[226:227], v[112:113], v[132:133]
	v_fma_f64 v[140:141], v[176:177], s[14:15], v[140:141]
	v_fma_f64 v[228:229], v[174:175], s[10:11], v[228:229]
	;; [unrolled: 1-line block ×5, first 2 shown]
	v_mul_f64 v[200:201], v[164:165], s[14:15]
	v_mul_f64 v[210:211], v[108:109], s[16:17]
	v_add_f64 v[180:181], v[96:97], v[180:181]
	v_add_f64 v[190:191], v[48:49], v[190:191]
	;; [unrolled: 1-line block ×3, first 2 shown]
	v_fma_f64 v[184:185], v[216:217], s[6:7], v[212:213]
	v_fma_f64 v[208:209], v[208:209], s[12:13], v[172:173]
	;; [unrolled: 1-line block ×4, first 2 shown]
	v_mul_f64 v[204:205], v[136:137], s[14:15]
	v_add_f64 v[230:231], v[234:235], v[230:231]
	v_fma_f64 v[194:195], v[218:219], s[12:13], v[194:195]
	v_fma_f64 v[212:213], v[216:217], s[12:13], v[236:237]
	;; [unrolled: 1-line block ×3, first 2 shown]
	v_add_f64 v[176:177], v[100:101], v[232:233]
	v_fma_f64 v[112:113], v[182:183], s[14:15], v[222:223]
	v_add_f64 v[196:197], v[84:85], v[226:227]
	v_mul_f64 v[216:217], v[140:141], s[16:17]
	v_fma_f64 v[84:85], v[224:225], s[14:15], v[228:229]
	v_mul_f64 v[222:223], v[132:133], s[14:15]
	v_fma_f64 v[152:153], v[224:225], s[14:15], v[174:175]
	;; [unrolled: 2-line block ×3, first 2 shown]
	v_fma_f64 v[186:187], v[188:189], s[14:15], v[186:187]
	v_fma_f64 v[188:189], v[198:199], s[14:15], v[202:203]
	s_waitcnt vmcnt(1)
	v_add_f64 v[202:203], v[64:65], v[128:129]
	v_fma_f64 v[200:201], v[92:93], s[4:5], v[200:201]
	v_fma_f64 v[198:199], v[198:199], s[14:15], v[206:207]
	v_fma_f64 v[206:207], v[168:169], s[12:13], -v[210:211]
	v_add_f64 v[172:173], v[190:191], v[180:181]
	v_add_f64 v[178:179], v[180:181], -v[190:191]
	v_fma_f64 v[190:191], v[218:219], s[10:11], v[184:185]
	v_fma_f64 v[184:185], v[182:183], s[14:15], v[208:209]
	v_mul_f64 v[208:209], v[48:49], s[16:17]
	v_fma_f64 v[204:205], v[170:171], s[4:5], -v[204:205]
	v_add_f64 v[210:211], v[56:57], v[88:89]
	v_fma_f64 v[218:219], v[220:221], s[14:15], v[194:195]
	v_add_f64 v[226:227], v[80:81], v[176:177]
	v_add_f64 v[40:41], v[40:41], v[196:197]
	v_fma_f64 v[216:217], v[112:113], s[12:13], v[216:217]
	v_fma_f64 v[212:213], v[230:231], s[14:15], v[212:213]
	;; [unrolled: 1-line block ×4, first 2 shown]
	v_fma_f64 v[230:231], v[152:153], s[4:5], -v[174:175]
	v_add_f64 v[174:175], v[192:193], v[224:225]
	v_add_f64 v[180:181], v[192:193], -v[224:225]
	v_add_f64 v[192:193], v[72:73], v[52:53]
	v_fma_f64 v[214:215], v[202:203], -0.5, v[104:105]
	v_add_f64 v[224:225], v[54:55], -v[74:75]
	v_add_f64 v[182:183], v[188:189], -v[200:201]
	v_add_f64 v[194:195], v[188:189], v[200:201]
	v_add_f64 v[176:177], v[186:187], v[206:207]
	v_add_f64 v[200:201], v[186:187], -v[206:207]
	s_waitcnt vmcnt(0)
	v_add_f64 v[186:187], v[60:61], v[124:125]
	v_fma_f64 v[190:191], v[220:221], s[14:15], v[190:191]
	v_fma_f64 v[220:221], v[184:185], s[12:13], -v[208:209]
	v_add_f64 v[196:197], v[198:199], v[204:205]
	v_fma_f64 v[188:189], v[210:211], -0.5, v[76:77]
	v_add_f64 v[198:199], v[198:199], -v[204:205]
	v_add_f64 v[234:235], v[64:65], -v[72:73]
	v_add_f64 v[202:203], v[40:41], v[226:227]
	v_add_f64 v[204:205], v[218:219], v[216:217]
	v_add_f64 v[206:207], v[218:219], -v[216:217]
	v_add_f64 v[208:209], v[212:213], -v[222:223]
	v_add_f64 v[210:211], v[212:213], v[222:223]
	v_add_f64 v[222:223], v[128:129], -v[52:53]
	v_add_f64 v[236:237], v[130:131], -v[66:67]
	;; [unrolled: 1-line block ×3, first 2 shown]
	v_fma_f64 v[192:193], v[192:193], -0.5, v[104:105]
	v_add_f64 v[244:245], v[72:73], -v[64:65]
	v_fma_f64 v[238:239], v[224:225], s[6:7], v[214:215]
	v_fma_f64 v[240:241], v[224:225], s[4:5], v[214:215]
	v_add_f64 v[246:247], v[124:125], -v[88:89]
	v_add_f64 v[248:249], v[60:61], -v[56:57]
	;; [unrolled: 1-line block ×3, first 2 shown]
	v_fma_f64 v[186:187], v[186:187], -0.5, v[76:77]
	v_add_f64 v[216:217], v[226:227], -v[40:41]
	v_add_f64 v[214:215], v[190:191], v[220:221]
	v_add_f64 v[40:41], v[58:59], v[90:91]
	v_add_f64 v[220:221], v[190:191], -v[220:221]
	v_add_f64 v[190:191], v[88:89], -v[124:125]
	;; [unrolled: 1-line block ×4, first 2 shown]
	v_add_f64 v[212:213], v[228:229], v[230:231]
	v_add_f64 v[218:219], v[228:229], -v[230:231]
	v_add_f64 v[104:105], v[128:129], v[104:105]
	v_add_f64 v[76:77], v[124:125], v[76:77]
	;; [unrolled: 1-line block ×3, first 2 shown]
	v_cmp_gt_u32_e64 s0, 36, v160
	v_fma_f64 v[228:229], v[236:237], s[4:5], v[192:193]
	v_fma_f64 v[230:231], v[236:237], s[6:7], v[192:193]
	v_add_f64 v[234:235], v[244:245], v[242:243]
	v_fma_f64 v[238:239], v[236:237], s[12:13], v[238:239]
	v_fma_f64 v[236:237], v[236:237], s[10:11], v[240:241]
	v_add_f64 v[240:241], v[248:249], v[246:247]
	v_add_f64 v[244:245], v[126:127], -v[90:91]
	v_fma_f64 v[242:243], v[252:253], s[6:7], v[186:187]
	v_fma_f64 v[186:187], v[252:253], s[4:5], v[186:187]
	v_add_f64 v[246:247], v[62:63], -v[58:59]
	v_fma_f64 v[40:41], v[40:41], -0.5, v[78:79]
	v_add_f64 v[248:249], v[124:125], -v[60:61]
	v_add_f64 v[226:227], v[226:227], v[190:191]
	v_add_f64 v[190:191], v[62:63], v[126:127]
	v_fma_f64 v[250:251], v[232:233], s[4:5], v[188:189]
	v_fma_f64 v[188:189], v[232:233], s[6:7], v[188:189]
	v_add_f64 v[104:105], v[52:53], v[104:105]
	v_fma_f64 v[124:125], v[224:225], s[12:13], v[228:229]
	v_fma_f64 v[242:243], v[232:233], s[12:13], v[242:243]
	;; [unrolled: 1-line block ×3, first 2 shown]
	v_add_f64 v[232:233], v[246:247], v[244:245]
	v_add_f64 v[246:247], v[88:89], -v[56:57]
	v_fma_f64 v[244:245], v[248:249], s[6:7], v[40:41]
	v_fma_f64 v[40:41], v[248:249], s[4:5], v[40:41]
	v_add_f64 v[88:89], v[88:89], v[76:77]
	v_fma_f64 v[190:191], v[190:191], -0.5, v[78:79]
	v_fma_f64 v[192:193], v[252:253], s[12:13], v[250:251]
	v_fma_f64 v[188:189], v[252:253], s[10:11], v[188:189]
	v_add_f64 v[252:253], v[58:59], -v[62:63]
	v_fma_f64 v[124:125], v[222:223], s[14:15], v[124:125]
	v_fma_f64 v[244:245], v[246:247], s[10:11], v[244:245]
	;; [unrolled: 1-line block ×5, first 2 shown]
	v_add_f64 v[246:247], v[90:91], -v[126:127]
	v_fma_f64 v[192:193], v[240:241], s[14:15], v[192:193]
	v_fma_f64 v[76:77], v[232:233], s[14:15], v[244:245]
	v_add_f64 v[246:247], v[252:253], v[246:247]
	v_fma_f64 v[252:253], v[248:249], s[10:11], v[40:41]
	v_fma_f64 v[248:249], v[248:249], s[12:13], v[190:191]
	;; [unrolled: 1-line block ×6, first 2 shown]
	v_add_f64 v[224:225], v[72:73], v[104:105]
	v_add_f64 v[226:227], v[56:57], v[88:89]
	v_fma_f64 v[230:231], v[234:235], s[14:15], v[238:239]
	v_fma_f64 v[238:239], v[234:235], s[14:15], v[236:237]
	v_mul_f64 v[228:229], v[192:193], s[16:17]
	v_fma_f64 v[88:89], v[232:233], s[14:15], v[250:251]
	v_fma_f64 v[56:57], v[246:247], s[14:15], v[252:253]
	v_fma_f64 v[104:105], v[246:247], s[14:15], v[248:249]
	v_mul_f64 v[232:233], v[40:41], s[16:17]
	v_mul_f64 v[234:235], v[190:191], s[14:15]
	v_mul_f64 v[236:237], v[188:189], s[14:15]
	v_fma_f64 v[186:187], v[222:223], s[14:15], v[186:187]
	v_add_f64 v[240:241], v[64:65], v[224:225]
	v_add_f64 v[60:61], v[60:61], v[226:227]
	v_fma_f64 v[226:227], v[76:77], s[12:13], v[228:229]
	v_fma_f64 v[244:245], v[88:89], s[12:13], -v[232:233]
	v_fma_f64 v[234:235], v[56:57], s[4:5], v[234:235]
	v_fma_f64 v[242:243], v[104:105], s[4:5], -v[236:237]
	v_add_f64 v[222:223], v[60:61], v[240:241]
	v_add_f64 v[236:237], v[240:241], -v[60:61]
	v_mul_u32_u24_e32 v60, 10, v160
	v_add_f64 v[224:225], v[124:125], v[226:227]
	v_add_f64 v[226:227], v[124:125], -v[226:227]
	v_add_f64 v[124:125], v[22:23], -v[34:35]
	v_lshl_add_u32 v161, v60, 3, 0
	v_add_f64 v[60:61], v[12:13], v[36:37]
	ds_write_b128 v161, v[172:175]
	v_add_f64 v[172:173], v[32:33], v[20:21]
	ds_write_b128 v161, v[194:197] offset:16
	ds_write_b128 v161, v[176:179] offset:32
	;; [unrolled: 1-line block ×3, first 2 shown]
	v_add_f64 v[174:175], v[20:21], -v[36:37]
	v_add_f64 v[176:177], v[32:33], -v[12:13]
	;; [unrolled: 1-line block ×4, first 2 shown]
	v_add_f64 v[196:197], v[34:35], v[22:23]
	v_add_f64 v[228:229], v[230:231], -v[234:235]
	v_add_f64 v[230:231], v[230:231], v[234:235]
	v_add_f64 v[232:233], v[238:239], v[242:243]
	;; [unrolled: 1-line block ×3, first 2 shown]
	v_add_f64 v[238:239], v[238:239], -v[242:243]
	v_add_f64 v[240:241], v[186:187], -v[244:245]
	;; [unrolled: 1-line block ×3, first 2 shown]
	ds_write_b128 v161, v[198:201] offset:64
	ds_write_b128 v161, v[202:205] offset:4800
	;; [unrolled: 1-line block ×11, first 2 shown]
	v_fma_f64 v[60:61], v[60:61], -0.5, v[4:5]
	v_fma_f64 v[172:173], v[172:173], -0.5, v[4:5]
	v_add_f64 v[174:175], v[176:177], v[174:175]
	v_fma_f64 v[196:197], v[196:197], -0.5, v[6:7]
	v_fma_f64 v[178:179], v[124:125], s[4:5], v[60:61]
	v_fma_f64 v[60:61], v[124:125], s[6:7], v[60:61]
	;; [unrolled: 1-line block ×6, first 2 shown]
	v_add_f64 v[180:181], v[36:37], -v[20:21]
	v_fma_f64 v[178:179], v[124:125], s[12:13], v[178:179]
	v_fma_f64 v[172:173], v[124:125], s[10:11], v[172:173]
	v_add_f64 v[182:183], v[182:183], v[180:181]
	v_add_f64 v[124:125], v[22:23], -v[38:39]
	v_add_f64 v[180:181], v[34:35], -v[14:15]
	v_fma_f64 v[172:173], v[182:183], s[14:15], v[172:173]
	v_add_f64 v[194:195], v[180:181], v[124:125]
	v_add_f64 v[124:125], v[14:15], v[38:39]
	v_add_f64 v[180:181], v[20:21], -v[32:33]
	v_fma_f64 v[124:125], v[124:125], -0.5, v[6:7]
	v_fma_f64 v[186:187], v[180:181], s[6:7], v[124:125]
	v_fma_f64 v[124:125], v[180:181], s[4:5], v[124:125]
	;; [unrolled: 1-line block ×6, first 2 shown]
	v_add_f64 v[196:197], v[38:39], -v[22:23]
	v_add_f64 v[242:243], v[14:15], -v[34:35]
	v_fma_f64 v[248:249], v[180:181], s[12:13], v[186:187]
	v_fma_f64 v[186:187], v[174:175], s[14:15], v[176:177]
	v_add_f64 v[196:197], v[242:243], v[196:197]
	v_fma_f64 v[242:243], v[180:181], s[10:11], v[124:125]
	v_fma_f64 v[124:125], v[174:175], s[14:15], v[60:61]
	v_fma_f64 v[180:181], v[182:183], s[14:15], v[178:179]
	v_fma_f64 v[174:175], v[194:195], s[14:15], v[244:245]
	v_fma_f64 v[178:179], v[194:195], s[14:15], v[246:247]
	v_fma_f64 v[182:183], v[196:197], s[14:15], v[248:249]
	v_fma_f64 v[176:177], v[196:197], s[14:15], v[242:243]
	s_and_saveexec_b32 s1, s0
	s_cbranch_execz .LBB0_15
; %bb.14:
	v_add_f64 v[60:61], v[8:9], v[24:25]
	v_add_f64 v[194:195], v[16:17], v[28:29]
	v_add_f64 v[196:197], v[30:31], -v[18:19]
	v_add_f64 v[198:199], v[28:29], v[0:1]
	v_add_f64 v[4:5], v[20:21], v[4:5]
	v_add_f64 v[20:21], v[26:27], -v[10:11]
	v_add_f64 v[200:201], v[16:17], -v[8:9]
	;; [unrolled: 1-line block ×3, first 2 shown]
	v_mul_f64 v[210:211], v[172:173], s[14:15]
	v_mul_f64 v[214:215], v[186:187], s[16:17]
	;; [unrolled: 1-line block ×4, first 2 shown]
	v_fma_f64 v[60:61], v[60:61], -0.5, v[0:1]
	v_fma_f64 v[0:1], v[194:195], -0.5, v[0:1]
	v_add_f64 v[194:195], v[28:29], -v[24:25]
	v_add_f64 v[198:199], v[24:25], v[198:199]
	v_add_f64 v[4:5], v[36:37], v[4:5]
	v_add_f64 v[36:37], v[8:9], -v[16:17]
	v_fma_f64 v[204:205], v[196:197], s[6:7], v[60:61]
	v_fma_f64 v[206:207], v[20:21], s[6:7], v[0:1]
	;; [unrolled: 1-line block ×4, first 2 shown]
	v_add_f64 v[194:195], v[200:201], v[194:195]
	v_add_f64 v[198:199], v[8:9], v[198:199]
	;; [unrolled: 1-line block ×4, first 2 shown]
	v_fma_f64 v[202:203], v[182:183], s[4:5], -v[210:211]
	v_fma_f64 v[36:37], v[20:21], s[10:11], v[204:205]
	v_fma_f64 v[200:201], v[196:197], s[12:13], v[206:207]
	;; [unrolled: 1-line block ×5, first 2 shown]
	v_add_f64 v[198:199], v[16:17], v[198:199]
	v_add_f64 v[4:5], v[32:33], v[4:5]
	v_fma_f64 v[32:33], v[174:175], s[12:13], v[214:215]
	v_fma_f64 v[60:61], v[178:179], s[12:13], -v[208:209]
	v_fma_f64 v[36:37], v[194:195], s[14:15], v[36:37]
	v_fma_f64 v[210:211], v[12:13], s[14:15], v[200:201]
	;; [unrolled: 1-line block ×4, first 2 shown]
	v_add_f64 v[196:197], v[198:199], -v[4:5]
	v_add_f64 v[198:199], v[4:5], v[198:199]
	v_add_f64 v[194:195], v[36:37], v[60:61]
	v_add_f64 v[208:209], v[210:211], -v[206:207]
	v_add_f64 v[212:213], v[0:1], v[202:203]
	v_add_f64 v[200:201], v[12:13], v[32:33]
	;; [unrolled: 1-line block ×3, first 2 shown]
	v_add_f64 v[206:207], v[12:13], -v[32:33]
	v_add_f64 v[204:205], v[36:37], -v[60:61]
	;; [unrolled: 1-line block ×3, first 2 shown]
	ds_write_b128 v161, v[198:201] offset:14400
	ds_write_b128 v161, v[210:213] offset:14416
	;; [unrolled: 1-line block ×5, first 2 shown]
.LBB0_15:
	s_or_b32 exec_lo, exec_lo, s1
	v_add_f64 v[0:1], v[122:123], v[146:147]
	v_add_f64 v[4:5], v[98:99], v[158:159]
	v_add_f64 v[12:13], v[158:159], v[110:111]
	v_add_f64 v[20:21], v[156:157], -v[96:97]
	v_add_f64 v[32:33], v[144:145], -v[120:121]
	v_add_f64 v[138:139], v[138:139], v[154:155]
	v_mul_f64 v[144:145], v[166:167], s[10:11]
	v_mul_f64 v[156:157], v[170:171], s[14:15]
	v_add_f64 v[166:167], v[102:103], v[70:71]
	v_add_f64 v[80:81], v[148:149], -v[80:81]
	v_add_f64 v[148:149], v[82:83], v[150:151]
	v_add_f64 v[94:95], v[94:95], v[134:135]
	;; [unrolled: 1-line block ×4, first 2 shown]
	v_add_f64 v[36:37], v[158:159], -v[146:147]
	v_add_f64 v[60:61], v[98:99], -v[122:123]
	;; [unrolled: 1-line block ×4, first 2 shown]
	v_mul_f64 v[154:155], v[164:165], s[6:7]
	v_add_f64 v[164:165], v[150:151], v[46:47]
	v_add_f64 v[68:69], v[68:69], -v[100:101]
	v_add_f64 v[194:195], v[130:131], v[106:107]
	v_fma_f64 v[0:1], v[0:1], -0.5, v[110:111]
	v_fma_f64 v[4:5], v[4:5], -0.5, v[110:111]
	v_add_f64 v[64:65], v[128:129], -v[64:65]
	v_add_f64 v[52:53], v[52:53], -v[72:73]
	v_add_f64 v[12:13], v[146:147], v[12:13]
	v_add_f64 v[138:139], v[142:143], v[138:139]
	;; [unrolled: 1-line block ×3, first 2 shown]
	v_mul_f64 v[158:159], v[168:169], s[16:17]
	v_fma_f64 v[142:143], v[166:167], -0.5, v[46:47]
	v_add_f64 v[100:101], v[150:151], -v[70:71]
	v_fma_f64 v[46:47], v[148:149], -0.5, v[46:47]
	v_add_f64 v[168:169], v[82:83], -v[102:103]
	v_fma_f64 v[134:135], v[134:135], -0.5, v[106:107]
	v_fma_f64 v[106:107], v[170:171], -0.5, v[106:107]
	v_add_f64 v[110:111], v[70:71], -v[150:151]
	v_add_f64 v[150:151], v[102:103], -v[82:83]
	;; [unrolled: 1-line block ×6, first 2 shown]
	v_add_f64 v[36:37], v[60:61], v[36:37]
	v_add_f64 v[60:61], v[120:121], v[96:97]
	v_fma_f64 v[148:149], v[20:21], s[6:7], v[0:1]
	v_fma_f64 v[166:167], v[32:33], s[4:5], v[4:5]
	;; [unrolled: 1-line block ×3, first 2 shown]
	v_add_f64 v[70:71], v[70:71], v[164:165]
	v_add_f64 v[94:95], v[114:115], v[94:95]
	v_fma_f64 v[4:5], v[32:33], s[6:7], v[4:5]
	v_fma_f64 v[0:1], v[20:21], s[4:5], v[0:1]
	v_add_f64 v[12:13], v[122:123], v[12:13]
	v_add_f64 v[114:115], v[118:119], v[138:139]
	v_fma_f64 v[116:117], v[80:81], s[6:7], v[142:143]
	v_fma_f64 v[118:119], v[80:81], s[4:5], v[142:143]
	;; [unrolled: 1-line block ×4, first 2 shown]
	v_add_f64 v[54:55], v[54:55], v[194:195]
	v_fma_f64 v[142:143], v[64:65], s[6:7], v[134:135]
	v_fma_f64 v[134:135], v[64:65], s[4:5], v[134:135]
	v_fma_f64 v[144:145], v[52:53], s[4:5], v[106:107]
	v_fma_f64 v[106:107], v[52:53], s[6:7], v[106:107]
	v_add_f64 v[78:79], v[90:91], v[78:79]
	v_mul_f64 v[140:141], v[140:141], s[10:11]
	v_mul_f64 v[132:133], v[132:133], s[6:7]
	;; [unrolled: 1-line block ×8, first 2 shown]
	v_fma_f64 v[122:123], v[32:33], s[10:11], v[148:149]
	v_fma_f64 v[138:139], v[20:21], s[10:11], v[166:167]
	v_add_f64 v[90:91], v[168:169], v[100:101]
	v_add_f64 v[100:101], v[150:151], v[110:111]
	;; [unrolled: 1-line block ×4, first 2 shown]
	v_fma_f64 v[4:5], v[20:21], s[12:13], v[4:5]
	v_fma_f64 v[0:1], v[32:33], s[12:13], v[0:1]
	v_add_f64 v[12:13], v[98:99], v[12:13]
	v_add_f64 v[20:21], v[50:51], v[114:115]
	v_fma_f64 v[32:33], v[68:69], s[10:11], v[116:117]
	v_fma_f64 v[50:51], v[68:69], s[12:13], v[118:119]
	;; [unrolled: 1-line block ×4, first 2 shown]
	v_add_f64 v[72:73], v[128:129], v[72:73]
	v_add_f64 v[98:99], v[146:147], v[130:131]
	;; [unrolled: 1-line block ×3, first 2 shown]
	v_fma_f64 v[74:75], v[52:53], s[10:11], v[142:143]
	v_fma_f64 v[52:53], v[52:53], s[12:13], v[134:135]
	;; [unrolled: 1-line block ×4, first 2 shown]
	v_add_f64 v[58:59], v[58:59], v[78:79]
	v_fma_f64 v[92:93], v[92:93], s[14:15], v[154:155]
	v_fma_f64 v[136:137], v[136:137], s[6:7], -v[156:157]
	v_fma_f64 v[80:81], v[36:37], s[14:15], v[122:123]
	v_fma_f64 v[94:95], v[60:61], s[14:15], v[138:139]
	v_fma_f64 v[78:79], v[108:109], s[10:11], -v[158:159]
	v_fma_f64 v[106:107], v[112:113], s[16:17], v[140:141]
	v_fma_f64 v[84:85], v[84:85], s[14:15], v[132:133]
	v_add_f64 v[70:71], v[82:83], v[70:71]
	v_fma_f64 v[4:5], v[60:61], s[14:15], v[4:5]
	v_fma_f64 v[0:1], v[36:37], s[14:15], v[0:1]
	v_add_f64 v[36:37], v[42:43], v[86:87]
	v_fma_f64 v[32:33], v[90:91], s[14:15], v[32:33]
	v_fma_f64 v[42:43], v[90:91], s[14:15], v[50:51]
	;; [unrolled: 1-line block ×4, first 2 shown]
	v_fma_f64 v[44:45], v[44:45], s[6:7], -v[152:153]
	v_fma_f64 v[48:49], v[48:49], s[10:11], -v[184:185]
	v_add_f64 v[54:55], v[66:67], v[54:55]
	v_fma_f64 v[60:61], v[72:73], s[14:15], v[74:75]
	v_fma_f64 v[52:53], v[72:73], s[14:15], v[52:53]
	;; [unrolled: 1-line block ×4, first 2 shown]
	v_add_f64 v[58:59], v[62:63], v[58:59]
	v_fma_f64 v[62:63], v[76:77], s[16:17], v[126:127]
	v_fma_f64 v[56:57], v[56:57], s[14:15], v[190:191]
	v_fma_f64 v[68:69], v[188:189], s[6:7], -v[104:105]
	v_fma_f64 v[40:41], v[40:41], s[10:11], -v[88:89]
	v_lshl_add_u32 v138, v160, 3, 0
	v_add_f64 v[114:115], v[80:81], v[96:97]
	v_add_f64 v[116:117], v[94:95], v[92:93]
	;; [unrolled: 1-line block ×4, first 2 shown]
	v_add_nc_u32_e32 v139, 0x800, v138
	v_add_nc_u32_e32 v143, 0x1400, v138
	;; [unrolled: 1-line block ×11, first 2 shown]
	v_add_f64 v[126:127], v[80:81], -v[96:97]
	v_add_f64 v[128:129], v[94:95], -v[92:93]
	;; [unrolled: 1-line block ×4, first 2 shown]
	v_add_f64 v[134:135], v[36:37], v[70:71]
	v_add_f64 v[136:137], v[32:33], v[106:107]
	;; [unrolled: 1-line block ×5, first 2 shown]
	v_add_f64 v[157:158], v[70:71], -v[36:37]
	v_add_f64 v[164:165], v[32:33], -v[106:107]
	;; [unrolled: 1-line block ×5, first 2 shown]
	v_add_f64 v[188:189], v[58:59], v[54:55]
	v_add_f64 v[190:191], v[60:61], v[62:63]
	;; [unrolled: 1-line block ×5, first 2 shown]
	v_add_f64 v[198:199], v[54:55], -v[58:59]
	v_add_f64 v[200:201], v[60:61], -v[62:63]
	;; [unrolled: 1-line block ×5, first 2 shown]
	s_waitcnt lgkmcnt(0)
	s_barrier
	buffer_gl0_inv
	ds_read2_b64 v[40:43], v138 offset1:60
	ds_read2_b64 v[88:91], v139 offset0:104 offset1:164
	ds_read2_b64 v[84:87], v143 offset0:80 offset1:140
	ds_read2_b64 v[80:83], v142 offset0:56 offset1:116
	ds_read2_b64 v[76:79], v141 offset0:160 offset1:220
	ds_read2_b64 v[56:59], v144 offset0:8 offset1:68
	ds_read2_b64 v[44:47], v138 offset0:120 offset1:180
	ds_read2_b64 v[52:55], v140 offset0:96 offset1:156
	ds_read2_b64 v[60:63], v145 offset0:72 offset1:132
	ds_read2_b64 v[64:67], v142 offset0:176 offset1:236
	ds_read2_b64 v[72:75], v148 offset0:24 offset1:84
	ds_read2_b64 v[68:71], v144 offset0:128 offset1:188
	ds_read2_b64 v[48:51], v146 offset0:112 offset1:172
	ds_read2_b64 v[108:111], v147 offset0:88 offset1:148
	ds_read2_b64 v[104:107], v145 offset0:192 offset1:252
	ds_read2_b64 v[100:103], v141 offset0:40 offset1:100
	ds_read2_b64 v[96:99], v148 offset0:144 offset1:204
	ds_read2_b64 v[92:95], v149 offset0:120 offset1:180
	v_add_f64 v[112:113], v[20:21], v[12:13]
	v_add_f64 v[122:123], v[12:13], -v[20:21]
	v_add_nc_u32_e32 v150, 0xb4, v160
	s_waitcnt lgkmcnt(0)
	s_barrier
	buffer_gl0_inv
	ds_write_b128 v161, v[112:115]
	ds_write_b128 v161, v[116:119] offset:16
	ds_write_b128 v161, v[120:123] offset:32
	;; [unrolled: 1-line block ×14, first 2 shown]
	s_and_saveexec_b32 s1, s0
	s_cbranch_execz .LBB0_17
; %bb.16:
	v_add_f64 v[0:1], v[10:11], v[26:27]
	v_add_f64 v[4:5], v[18:19], v[30:31]
	;; [unrolled: 1-line block ×3, first 2 shown]
	v_add_f64 v[16:17], v[28:29], -v[16:17]
	v_add_f64 v[6:7], v[22:23], v[6:7]
	v_add_f64 v[8:9], v[24:25], -v[8:9]
	s_mov_b32 s4, 0x134454ff
	s_mov_b32 s5, 0xbfee6f0e
	s_mov_b32 s7, 0x3fee6f0e
	s_mov_b32 s6, s4
	v_add_f64 v[20:21], v[18:19], -v[10:11]
	v_add_f64 v[22:23], v[26:27], -v[30:31]
	v_add_f64 v[24:25], v[10:11], -v[18:19]
	s_mov_b32 s10, 0x372fe950
	s_mov_b32 s11, 0x3fd3c6ef
	;; [unrolled: 1-line block ×5, first 2 shown]
	v_mul_f64 v[32:33], v[180:181], s[4:5]
	v_mul_f64 v[36:37], v[182:183], s[10:11]
	v_fma_f64 v[0:1], v[0:1], -0.5, v[2:3]
	v_fma_f64 v[2:3], v[4:5], -0.5, v[2:3]
	v_add_f64 v[4:5], v[30:31], -v[26:27]
	v_add_f64 v[12:13], v[26:27], v[12:13]
	v_add_f64 v[6:7], v[38:39], v[6:7]
	v_mul_f64 v[38:39], v[178:179], s[14:15]
	v_fma_f64 v[26:27], v[16:17], s[4:5], v[0:1]
	v_fma_f64 v[28:29], v[8:9], s[6:7], v[2:3]
	;; [unrolled: 1-line block ×4, first 2 shown]
	s_mov_b32 s6, 0x4755a5e
	s_mov_b32 s7, 0xbfe2cf23
	;; [unrolled: 1-line block ×3, first 2 shown]
	v_mul_f64 v[30:31], v[186:187], s[6:7]
	v_add_f64 v[4:5], v[20:21], v[4:5]
	v_add_f64 v[10:11], v[10:11], v[12:13]
	;; [unrolled: 1-line block ×4, first 2 shown]
	v_fma_f64 v[22:23], v[176:177], s[10:11], v[32:33]
	v_fma_f64 v[24:25], v[172:173], s[4:5], -v[36:37]
	v_fma_f64 v[14:15], v[8:9], s[6:7], v[26:27]
	v_fma_f64 v[20:21], v[16:17], s[6:7], v[28:29]
	;; [unrolled: 1-line block ×5, first 2 shown]
	v_add_f64 v[8:9], v[18:19], v[10:11]
	v_add_f64 v[6:7], v[34:35], v[6:7]
	v_fma_f64 v[18:19], v[124:125], s[6:7], -v[38:39]
	v_fma_f64 v[14:15], v[4:5], s[10:11], v[14:15]
	v_fma_f64 v[20:21], v[12:13], s[10:11], v[20:21]
	;; [unrolled: 1-line block ×4, first 2 shown]
	v_add_f64 v[0:1], v[6:7], v[8:9]
	v_add_f64 v[6:7], v[8:9], -v[6:7]
	v_add_f64 v[2:3], v[14:15], v[16:17]
	v_add_f64 v[8:9], v[20:21], v[22:23]
	;; [unrolled: 1-line block ×4, first 2 shown]
	v_add_f64 v[12:13], v[14:15], -v[16:17]
	v_add_f64 v[14:15], v[20:21], -v[22:23]
	;; [unrolled: 1-line block ×4, first 2 shown]
	v_mul_u32_u24_e32 v20, 10, v150
	v_lshl_add_u32 v20, v20, 3, 0
	ds_write_b128 v20, v[0:3]
	ds_write_b128 v20, v[8:11] offset:16
	ds_write_b128 v20, v[4:7] offset:32
	;; [unrolled: 1-line block ×4, first 2 shown]
.LBB0_17:
	s_or_b32 exec_lo, exec_lo, s1
	v_add_nc_u32_e32 v136, 0xf0, v160
	v_mov_b32_e32 v0, 0xcccd
	v_add_nc_u32_e32 v137, 0x12c, v160
	v_mov_b32_e32 v12, 5
	s_waitcnt lgkmcnt(0)
	s_barrier
	v_mul_u32_u24_sdwa v1, v136, v0 dst_sel:DWORD dst_unused:UNUSED_PAD src0_sel:WORD_0 src1_sel:DWORD
	v_mul_u32_u24_sdwa v0, v137, v0 dst_sel:DWORD dst_unused:UNUSED_PAD src0_sel:WORD_0 src1_sel:DWORD
	buffer_gl0_inv
	v_and_b32_e32 v15, 0xff, v160
	v_add_nc_u16 v16, v160, 60
	v_lshrrev_b32_e32 v155, 19, v1
	v_lshrrev_b32_e32 v157, 19, v0
	v_and_b32_e32 v151, 0xff, v150
	v_mul_lo_u16 v15, 0xcd, v15
	v_and_b32_e32 v17, 0xff, v16
	v_mul_lo_u16 v1, v155, 10
	v_mul_lo_u16 v0, v157, 10
	v_add_nc_u16 v152, v160, 0x78
	v_lshrrev_b16 v159, 11, v15
	v_mul_lo_u16 v15, 0xcd, v17
	v_sub_nc_u16 v156, v136, v1
	v_sub_nc_u16 v154, v137, v0
	v_and_b32_e32 v153, 0xff, v152
	v_mul_lo_u16 v17, v159, 10
	v_lshrrev_b16 v161, 11, v15
	v_mul_u32_u24_sdwa v1, v156, v12 dst_sel:DWORD dst_unused:UNUSED_PAD src0_sel:WORD_0 src1_sel:DWORD
	v_mul_u32_u24_sdwa v4, v154, v12 dst_sel:DWORD dst_unused:UNUSED_PAD src0_sel:WORD_0 src1_sel:DWORD
	s_mov_b32 s0, 0xe8584caa
	v_sub_nc_u16 v248, v160, v17
	v_mul_lo_u16 v15, v161, 10
	v_lshlrev_b32_e32 v13, 4, v1
	v_lshlrev_b32_e32 v14, 4, v4
	s_mov_b32 s1, 0x3febb67a
	v_mul_u32_u24_sdwa v17, v248, v12 dst_sel:DWORD dst_unused:UNUSED_PAD src0_sel:BYTE_0 src1_sel:DWORD
	v_sub_nc_u16 v158, v16, v15
	s_clause 0x7
	global_load_dwordx4 v[0:3], v13, s[8:9]
	global_load_dwordx4 v[4:7], v14, s[8:9]
	global_load_dwordx4 v[8:11], v13, s[8:9] offset:16
	global_load_dwordx4 v[116:119], v14, s[8:9] offset:16
	;; [unrolled: 1-line block ×6, first 2 shown]
	v_mul_u32_u24_sdwa v15, v158, v12 dst_sel:DWORD dst_unused:UNUSED_PAD src0_sel:BYTE_0 src1_sel:DWORD
	v_lshlrev_b32_e32 v13, 4, v17
	s_clause 0x1
	global_load_dwordx4 v[172:175], v14, s[8:9] offset:48
	global_load_dwordx4 v[180:183], v14, s[8:9] offset:64
	s_mov_b32 s5, 0xbfebb67a
	v_lshlrev_b32_e32 v14, 4, v15
	s_clause 0x5
	global_load_dwordx4 v[184:187], v13, s[8:9]
	global_load_dwordx4 v[188:191], v14, s[8:9]
	global_load_dwordx4 v[192:195], v13, s[8:9] offset:16
	global_load_dwordx4 v[196:199], v14, s[8:9] offset:16
	;; [unrolled: 1-line block ×4, first 2 shown]
	v_mul_lo_u16 v15, 0xcd, v151
	s_clause 0x1
	global_load_dwordx4 v[204:207], v14, s[8:9] offset:32
	global_load_dwordx4 v[212:215], v14, s[8:9] offset:48
	s_mov_b32 s4, s0
	v_lshrrev_b16 v249, 11, v15
	v_mul_lo_u16 v15, v249, 10
	v_sub_nc_u16 v250, v150, v15
	v_mul_lo_u16 v15, 0xcd, v153
	v_mul_u32_u24_sdwa v16, v250, v12 dst_sel:DWORD dst_unused:UNUSED_PAD src0_sel:BYTE_0 src1_sel:DWORD
	v_lshrrev_b16 v251, 11, v15
	v_lshlrev_b32_e32 v15, 4, v16
	v_mul_lo_u16 v16, v251, 10
	global_load_dwordx4 v[216:219], v15, s[8:9] offset:16
	v_sub_nc_u16 v252, v152, v16
	s_clause 0x2
	global_load_dwordx4 v[220:223], v15, s[8:9] offset:32
	global_load_dwordx4 v[224:227], v15, s[8:9] offset:48
	;; [unrolled: 1-line block ×3, first 2 shown]
	v_mul_u32_u24_sdwa v12, v252, v12 dst_sel:DWORD dst_unused:UNUSED_PAD src0_sel:BYTE_0 src1_sel:DWORD
	v_lshlrev_b32_e32 v12, 4, v12
	s_clause 0x7
	global_load_dwordx4 v[232:235], v13, s[8:9] offset:64
	global_load_dwordx4 v[36:39], v14, s[8:9] offset:64
	global_load_dwordx4 v[32:35], v12, s[8:9]
	global_load_dwordx4 v[28:31], v12, s[8:9] offset:16
	global_load_dwordx4 v[24:27], v12, s[8:9] offset:32
	;; [unrolled: 1-line block ×4, first 2 shown]
	global_load_dwordx4 v[12:15], v15, s[8:9]
	ds_read2_b64 v[120:123], v147 offset0:88 offset1:148
	ds_read2_b64 v[128:131], v145 offset0:192 offset1:252
	;; [unrolled: 1-line block ×3, first 2 shown]
	s_waitcnt vmcnt(28) lgkmcnt(2)
	v_mul_f64 v[236:237], v[122:123], v[6:7]
	v_mul_f64 v[112:113], v[120:121], v[2:3]
	v_mul_f64 v[2:3], v[108:109], v[2:3]
	v_mul_f64 v[6:7], v[110:111], v[6:7]
	s_waitcnt vmcnt(27) lgkmcnt(1)
	v_mul_f64 v[238:239], v[128:129], v[10:11]
	v_mul_f64 v[10:11], v[104:105], v[10:11]
	s_waitcnt vmcnt(26)
	v_mul_f64 v[240:241], v[130:131], v[118:119]
	v_mul_f64 v[118:119], v[106:107], v[118:119]
	s_waitcnt vmcnt(25) lgkmcnt(0)
	v_mul_f64 v[242:243], v[132:133], v[126:127]
	v_mul_f64 v[244:245], v[100:101], v[126:127]
	s_waitcnt vmcnt(23)
	v_mul_f64 v[246:247], v[134:135], v[166:167]
	v_mul_f64 v[166:167], v[102:103], v[166:167]
	v_fma_f64 v[114:115], v[108:109], v[0:1], -v[112:113]
	v_fma_f64 v[112:113], v[120:121], v[0:1], v[2:3]
	ds_read2_b64 v[0:3], v148 offset0:144 offset1:204
	v_fma_f64 v[108:109], v[110:111], v[4:5], -v[236:237]
	v_fma_f64 v[110:111], v[122:123], v[4:5], v[6:7]
	ds_read2_b64 v[4:7], v149 offset0:120 offset1:180
	;; [unrolled: 3-line block ×3, first 2 shown]
	v_fma_f64 v[120:121], v[106:107], v[116:117], -v[240:241]
	v_mul_f64 v[106:107], v[96:97], v[170:171]
	v_fma_f64 v[122:123], v[130:131], v[116:117], v[118:119]
	v_fma_f64 v[130:131], v[100:101], v[124:125], -v[242:243]
	v_fma_f64 v[132:133], v[132:133], v[124:125], v[244:245]
	v_fma_f64 v[124:125], v[102:103], v[164:165], -v[246:247]
	ds_read2_b64 v[236:239], v143 offset0:80 offset1:140
	v_fma_f64 v[134:135], v[134:135], v[164:165], v[166:167]
	ds_read2_b64 v[164:167], v142 offset0:56 offset1:116
	s_waitcnt lgkmcnt(4)
	v_mul_f64 v[104:105], v[0:1], v[170:171]
	s_waitcnt vmcnt(21)
	v_mul_f64 v[118:119], v[2:3], v[174:175]
	v_mul_f64 v[170:171], v[98:99], v[174:175]
	s_waitcnt lgkmcnt(3)
	v_mul_f64 v[174:175], v[4:5], v[178:179]
	s_waitcnt vmcnt(20)
	v_mul_f64 v[102:103], v[6:7], v[182:183]
	v_mul_f64 v[178:179], v[92:93], v[178:179]
	s_waitcnt vmcnt(19) lgkmcnt(2)
	v_mul_f64 v[240:241], v[8:9], v[186:187]
	s_waitcnt vmcnt(18)
	v_mul_f64 v[242:243], v[10:11], v[190:191]
	v_mul_f64 v[182:183], v[94:95], v[182:183]
	v_mul_f64 v[186:187], v[88:89], v[186:187]
	v_fma_f64 v[100:101], v[0:1], v[168:169], v[106:107]
	v_mul_f64 v[190:191], v[90:91], v[190:191]
	s_waitcnt vmcnt(16) lgkmcnt(1)
	v_mul_f64 v[246:247], v[238:239], v[198:199]
	v_mul_f64 v[198:199], v[86:87], v[198:199]
	;; [unrolled: 1-line block ×4, first 2 shown]
	v_fma_f64 v[116:117], v[96:97], v[168:169], -v[104:105]
	v_fma_f64 v[96:97], v[98:99], v[172:173], -v[118:119]
	v_fma_f64 v[98:99], v[2:3], v[172:173], v[170:171]
	v_fma_f64 v[118:119], v[92:93], v[176:177], -v[174:175]
	v_fma_f64 v[92:93], v[94:95], v[180:181], -v[102:103]
	ds_read2_b64 v[168:171], v141 offset0:160 offset1:220
	v_fma_f64 v[102:103], v[88:89], v[184:185], -v[240:241]
	s_waitcnt vmcnt(15) lgkmcnt(1)
	v_mul_f64 v[240:241], v[164:165], v[202:203]
	v_mul_f64 v[202:203], v[80:81], v[202:203]
	v_fma_f64 v[88:89], v[90:91], v[188:189], -v[242:243]
	s_waitcnt vmcnt(13)
	v_mul_f64 v[242:243], v[166:167], v[206:207]
	ds_read2_b64 v[0:3], v138 offset1:60
	v_fma_f64 v[106:107], v[4:5], v[176:177], v[178:179]
	v_fma_f64 v[86:87], v[86:87], v[196:197], -v[246:247]
	v_fma_f64 v[196:197], v[238:239], v[196:197], v[198:199]
	v_mul_f64 v[198:199], v[82:83], v[206:207]
	ds_read2_b64 v[172:175], v144 offset0:8 offset1:68
	v_fma_f64 v[94:95], v[6:7], v[180:181], v[182:183]
	ds_read2_b64 v[4:7], v138 offset0:120 offset1:180
	ds_read2_b64 v[176:179], v140 offset0:96 offset1:156
	v_fma_f64 v[104:105], v[8:9], v[184:185], v[186:187]
	ds_read2_b64 v[180:183], v145 offset0:72 offset1:132
	v_fma_f64 v[90:91], v[10:11], v[188:189], v[190:191]
	ds_read2_b64 v[184:187], v142 offset0:176 offset1:236
	ds_read2_b64 v[188:191], v148 offset0:24 offset1:84
	v_fma_f64 v[84:85], v[84:85], v[192:193], -v[244:245]
	v_fma_f64 v[236:237], v[236:237], v[192:193], v[194:195]
	s_waitcnt lgkmcnt(7)
	v_mul_f64 v[206:207], v[168:169], v[210:211]
	ds_read2_b64 v[192:195], v144 offset0:128 offset1:188
	v_mov_b32_e32 v238, 0x1e0
	v_mov_b32_e32 v246, 3
	v_fma_f64 v[80:81], v[80:81], v[200:201], -v[240:241]
	v_fma_f64 v[164:165], v[164:165], v[200:201], v[202:203]
	v_mul_f64 v[200:201], v[76:77], v[210:211]
	s_waitcnt vmcnt(12)
	v_mul_f64 v[202:203], v[170:171], v[214:215]
	v_mul_u32_u24_sdwa v159, v159, v238 dst_sel:DWORD dst_unused:UNUSED_PAD src0_sel:WORD_0 src1_sel:DWORD
	v_lshlrev_b32_sdwa v239, v246, v248 dst_sel:DWORD dst_unused:UNUSED_PAD src0_sel:DWORD src1_sel:BYTE_0
	v_mul_f64 v[210:211], v[78:79], v[214:215]
	v_fma_f64 v[82:83], v[82:83], v[204:205], -v[242:243]
	v_fma_f64 v[166:167], v[166:167], v[204:205], v[198:199]
	s_waitcnt vmcnt(10)
	v_mul_f64 v[204:205], v[66:67], v[222:223]
	v_add3_u32 v247, 0, v159, v239
	s_waitcnt lgkmcnt(3)
	v_mul_f64 v[214:215], v[182:183], v[218:219]
	s_waitcnt lgkmcnt(2)
	v_mul_f64 v[198:199], v[186:187], v[222:223]
	v_lshlrev_b32_sdwa v239, v246, v158 dst_sel:DWORD dst_unused:UNUSED_PAD src0_sel:DWORD src1_sel:BYTE_0
	s_waitcnt vmcnt(9) lgkmcnt(1)
	v_mul_f64 v[158:159], v[190:191], v[226:227]
	v_mul_f64 v[222:223], v[74:75], v[226:227]
	;; [unrolled: 1-line block ×3, first 2 shown]
	v_mul_u32_u24_sdwa v240, v249, v238 dst_sel:DWORD dst_unused:UNUSED_PAD src0_sel:WORD_0 src1_sel:DWORD
	v_fma_f64 v[76:77], v[76:77], v[208:209], -v[206:207]
	s_waitcnt vmcnt(8)
	v_mul_f64 v[206:207], v[70:71], v[230:231]
	v_mul_u32_u24_e32 v248, 0x1e0, v155
	v_lshlrev_b32_sdwa v155, v246, v250 dst_sel:DWORD dst_unused:UNUSED_PAD src0_sel:DWORD src1_sel:BYTE_0
	ds_read2_b64 v[8:11], v146 offset0:112 offset1:172
	v_mul_u32_u24_sdwa v161, v161, v238 dst_sel:DWORD dst_unused:UNUSED_PAD src0_sel:WORD_0 src1_sel:DWORD
	v_fma_f64 v[168:169], v[168:169], v[208:209], v[200:201]
	s_waitcnt lgkmcnt(1)
	v_mul_f64 v[200:201], v[194:195], v[230:231]
	v_fma_f64 v[78:79], v[78:79], v[212:213], -v[202:203]
	s_waitcnt vmcnt(7)
	v_mul_f64 v[202:203], v[172:173], v[234:235]
	v_mul_f64 v[208:209], v[56:57], v[234:235]
	v_fma_f64 v[170:171], v[170:171], v[212:213], v[210:211]
	s_waitcnt vmcnt(6)
	v_mul_f64 v[210:211], v[174:175], v[38:39]
	v_mul_f64 v[38:39], v[58:59], v[38:39]
	s_waitcnt vmcnt(5)
	v_mul_f64 v[212:213], v[176:177], v[34:35]
	v_mul_f64 v[34:35], v[52:53], v[34:35]
	v_fma_f64 v[62:63], v[62:63], v[216:217], -v[214:215]
	s_waitcnt vmcnt(4)
	v_mul_f64 v[214:215], v[180:181], v[30:31]
	v_mul_f64 v[30:31], v[60:61], v[30:31]
	v_fma_f64 v[66:67], v[66:67], v[220:221], -v[198:199]
	;; [unrolled: 4-line block ×3, first 2 shown]
	v_fma_f64 v[158:159], v[190:191], v[224:225], v[222:223]
	s_waitcnt vmcnt(2)
	v_mul_f64 v[190:191], v[188:189], v[22:23]
	v_mul_f64 v[22:23], v[72:73], v[22:23]
	v_fma_f64 v[182:183], v[182:183], v[216:217], v[218:219]
	v_fma_f64 v[186:187], v[186:187], v[220:221], v[204:205]
	;; [unrolled: 1-line block ×3, first 2 shown]
	v_fma_f64 v[70:71], v[70:71], v[228:229], -v[200:201]
	s_waitcnt vmcnt(1)
	v_mul_f64 v[200:201], v[192:193], v[18:19]
	v_mul_f64 v[18:19], v[68:69], v[18:19]
	v_fma_f64 v[56:57], v[56:57], v[232:233], -v[202:203]
	s_waitcnt vmcnt(0)
	v_mul_f64 v[202:203], v[178:179], v[14:15]
	v_mul_f64 v[14:15], v[54:55], v[14:15]
	v_fma_f64 v[172:173], v[172:173], v[232:233], v[208:209]
	v_fma_f64 v[58:59], v[58:59], v[36:37], -v[210:211]
	v_fma_f64 v[36:37], v[174:175], v[36:37], v[38:39]
	v_fma_f64 v[38:39], v[52:53], v[32:33], -v[212:213]
	;; [unrolled: 2-line block ×4, first 2 shown]
	v_fma_f64 v[24:25], v[184:185], v[24:25], v[26:27]
	v_mul_u32_u24_sdwa v238, v251, v238 dst_sel:DWORD dst_unused:UNUSED_PAD src0_sel:WORD_0 src1_sel:DWORD
	v_lshlrev_b32_sdwa v250, v246, v156 dst_sel:DWORD dst_unused:UNUSED_PAD src0_sel:DWORD src1_sel:WORD_0
	v_fma_f64 v[26:27], v[72:73], v[20:21], -v[190:191]
	v_fma_f64 v[20:21], v[188:189], v[20:21], v[22:23]
	v_add3_u32 v251, 0, v240, v155
	v_add_f64 v[52:53], v[84:85], v[76:77]
	v_add_f64 v[155:156], v[46:47], v[62:63]
	v_add_f64 v[176:177], v[182:183], -v[158:159]
	v_fma_f64 v[22:23], v[68:69], v[16:17], -v[200:201]
	v_fma_f64 v[16:17], v[192:193], v[16:17], v[18:19]
	v_add_f64 v[68:69], v[84:85], -v[76:77]
	v_fma_f64 v[18:19], v[54:55], v[12:13], -v[202:203]
	v_fma_f64 v[12:13], v[178:179], v[12:13], v[14:15]
	v_add_f64 v[14:15], v[40:41], v[84:85]
	v_add_f64 v[84:85], v[104:105], v[164:165]
	;; [unrolled: 1-line block ×7, first 2 shown]
	v_lshlrev_b32_sdwa v241, v246, v252 dst_sel:DWORD dst_unused:UNUSED_PAD src0_sel:DWORD src1_sel:BYTE_0
	v_add_f64 v[212:213], v[50:51], v[120:121]
	s_waitcnt lgkmcnt(0)
	v_add_f64 v[218:219], v[10:11], v[122:123]
	v_add_f64 v[220:221], v[108:109], v[124:125]
	v_add_f64 v[224:225], v[134:135], -v[94:95]
	v_add_f64 v[226:227], v[110:111], v[134:135]
	v_add_f64 v[134:135], v[134:135], v[94:95]
	v_add_f64 v[228:229], v[80:81], v[56:57]
	v_add_f64 v[230:231], v[164:165], -v[172:173]
	v_add_f64 v[164:165], v[164:165], v[172:173]
	;; [unrolled: 4-line block ×4, first 2 shown]
	v_add_f64 v[132:133], v[132:133], v[106:107]
	v_add_f64 v[244:245], v[166:167], -v[36:37]
	v_add_f64 v[14:15], v[14:15], v[76:77]
	v_add_f64 v[76:77], v[90:91], v[166:167]
	;; [unrolled: 1-line block ×3, first 2 shown]
	v_add3_u32 v161, 0, v161, v239
	v_add3_u32 v252, 0, v238, v241
	v_add_f64 v[54:55], v[236:237], -v[168:169]
	v_add_f64 v[64:65], v[236:237], v[168:169]
	v_add_f64 v[174:175], v[62:63], v[74:75]
	v_add_f64 v[62:63], v[62:63], -v[74:75]
	v_add_f64 v[184:185], v[186:187], -v[194:195]
	;; [unrolled: 1-line block ×3, first 2 shown]
	v_add_f64 v[198:199], v[126:127], v[116:117]
	v_add_f64 v[126:127], v[126:127], -v[116:117]
	v_add_f64 v[232:233], v[42:43], v[86:87]
	v_add_f64 v[236:237], v[196:197], -v[170:171]
	v_add_f64 v[238:239], v[2:3], v[196:197]
	v_add_f64 v[196:197], v[196:197], v[170:171]
	;; [unrolled: 1-line block ×5, first 2 shown]
	v_add_f64 v[172:173], v[28:29], -v[20:21]
	v_add_f64 v[74:75], v[155:156], v[74:75]
	v_add_f64 v[155:156], v[4:5], v[28:29]
	;; [unrolled: 1-line block ×4, first 2 shown]
	v_fma_f64 v[18:19], v[182:183], -0.5, v[18:19]
	v_add_f64 v[182:183], v[30:31], v[22:23]
	v_add_f64 v[186:187], v[12:13], v[186:187]
	v_fma_f64 v[12:13], v[188:189], -0.5, v[12:13]
	v_add_f64 v[188:189], v[24:25], -v[16:17]
	v_add_f64 v[116:117], v[192:193], v[116:117]
	v_add_f64 v[192:193], v[32:33], v[24:25]
	;; [unrolled: 1-line block ×4, first 2 shown]
	v_add_f64 v[216:217], v[122:123], -v[98:99]
	v_add_f64 v[122:123], v[122:123], v[98:99]
	v_add_f64 v[222:223], v[124:125], v[92:93]
	;; [unrolled: 1-line block ×3, first 2 shown]
	v_add_f64 v[120:121], v[120:121], -v[96:97]
	v_add_f64 v[124:125], v[124:125], -v[92:93]
	;; [unrolled: 1-line block ×3, first 2 shown]
	v_add_f64 v[96:97], v[212:213], v[96:97]
	v_add_f64 v[98:99], v[218:219], v[98:99]
	;; [unrolled: 1-line block ×4, first 2 shown]
	v_fma_f64 v[110:111], v[134:135], -0.5, v[110:111]
	v_fma_f64 v[102:103], v[228:229], -0.5, v[102:103]
	;; [unrolled: 1-line block ×3, first 2 shown]
	v_mul_u32_u24_e32 v249, 0x1e0, v157
	v_add_f64 v[130:131], v[130:131], -v[118:119]
	v_add_f64 v[60:61], v[60:61], v[168:169]
	v_add_f64 v[168:169], v[44:45], v[34:35]
	;; [unrolled: 1-line block ×6, first 2 shown]
	v_fma_f64 v[40:41], v[52:53], -0.5, v[40:41]
	v_fma_f64 v[6:7], v[180:181], -0.5, v[6:7]
	v_add_f64 v[52:53], v[202:203], v[100:101]
	v_fma_f64 v[8:9], v[128:129], -0.5, v[8:9]
	v_fma_f64 v[100:101], v[206:207], -0.5, v[114:115]
	;; [unrolled: 1-line block ×3, first 2 shown]
	v_add_f64 v[82:83], v[82:83], -v[58:59]
	v_add_f64 v[36:37], v[76:77], v[36:37]
	v_fma_f64 v[76:77], v[166:167], -0.5, v[90:91]
	v_add_f64 v[234:235], v[86:87], v[78:79]
	v_add_f64 v[86:87], v[86:87], -v[78:79]
	v_add_f64 v[34:35], v[34:35], -v[26:27]
	;; [unrolled: 1-line block ×3, first 2 shown]
	v_add_f64 v[78:79], v[232:233], v[78:79]
	v_add_f64 v[114:115], v[238:239], v[170:171]
	v_fma_f64 v[2:3], v[196:197], -0.5, v[2:3]
	v_add_f64 v[58:59], v[240:241], v[58:59]
	v_fma_f64 v[88:89], v[242:243], -0.5, v[88:89]
	v_fma_f64 v[4:5], v[28:29], -0.5, v[4:5]
	;; [unrolled: 1-line block ×5, first 2 shown]
	v_add_f64 v[64:65], v[204:205], v[118:119]
	v_fma_f64 v[10:11], v[122:123], -0.5, v[10:11]
	v_fma_f64 v[108:109], v[222:223], -0.5, v[108:109]
	v_fma_f64 v[132:133], v[124:125], s[4:5], v[110:111]
	v_fma_f64 v[110:111], v[124:125], s[0:1], v[110:111]
	v_add_f64 v[124:125], v[96:97], v[92:93]
	v_add_f64 v[134:135], v[98:99], v[94:95]
	v_add_f64 v[92:93], v[96:97], -v[92:93]
	v_add_f64 v[94:95], v[98:99], -v[94:95]
	v_fma_f64 v[96:97], v[230:231], s[0:1], v[102:103]
	v_fma_f64 v[98:99], v[230:231], s[4:5], v[102:103]
	;; [unrolled: 1-line block ×3, first 2 shown]
	v_fma_f64 v[46:47], v[174:175], -0.5, v[46:47]
	v_add_f64 v[26:27], v[168:169], v[26:27]
	v_fma_f64 v[44:45], v[72:73], -0.5, v[44:45]
	v_add_f64 v[20:21], v[155:156], v[20:21]
	v_add_f64 v[22:23], v[178:179], v[22:23]
	;; [unrolled: 1-line block ×5, first 2 shown]
	v_fma_f64 v[70:71], v[62:63], s[4:5], v[6:7]
	v_fma_f64 v[6:7], v[62:63], s[0:1], v[6:7]
	;; [unrolled: 1-line block ×12, first 2 shown]
	v_fma_f64 v[48:49], v[198:199], -0.5, v[48:49]
	v_fma_f64 v[164:165], v[82:83], s[4:5], v[76:77]
	v_fma_f64 v[155:156], v[86:87], s[4:5], v[2:3]
	;; [unrolled: 1-line block ×6, first 2 shown]
	v_add_f64 v[82:83], v[78:79], v[58:59]
	v_add_f64 v[166:167], v[114:115], v[36:37]
	v_add_f64 v[58:59], v[78:79], -v[58:59]
	v_add_f64 v[78:79], v[114:115], -v[36:37]
	v_fma_f64 v[114:115], v[34:35], s[4:5], v[4:5]
	v_fma_f64 v[4:5], v[34:35], s[0:1], v[4:5]
	;; [unrolled: 1-line block ×6, first 2 shown]
	v_add_f64 v[128:129], v[116:117], v[64:65]
	v_add_f64 v[64:65], v[116:117], -v[64:65]
	v_fma_f64 v[116:117], v[120:121], s[4:5], v[10:11]
	v_fma_f64 v[10:11], v[120:121], s[0:1], v[10:11]
	;; [unrolled: 1-line block ×5, first 2 shown]
	v_mul_f64 v[190:191], v[110:111], -0.5
	v_mul_f64 v[192:193], v[102:103], s[0:1]
	v_add_f64 v[106:107], v[210:211], v[106:107]
	v_fma_f64 v[50:51], v[214:215], -0.5, v[50:51]
	v_fma_f64 v[66:67], v[54:55], s[0:1], v[40:41]
	v_fma_f64 v[40:41], v[54:55], s[4:5], v[40:41]
	;; [unrolled: 1-line block ×4, first 2 shown]
	v_add_f64 v[68:69], v[14:15], v[56:57]
	v_add_f64 v[90:91], v[60:61], v[84:85]
	v_add_f64 v[14:15], v[14:15], -v[56:57]
	v_add_f64 v[56:57], v[60:61], -v[84:85]
	v_fma_f64 v[60:61], v[176:177], s[0:1], v[46:47]
	v_fma_f64 v[46:47], v[176:177], s[4:5], v[46:47]
	;; [unrolled: 1-line block ×4, first 2 shown]
	v_add_f64 v[30:31], v[26:27], v[22:23]
	v_add_f64 v[170:171], v[20:21], v[16:17]
	v_add_f64 v[22:23], v[26:27], -v[22:23]
	v_add_f64 v[172:173], v[20:21], -v[16:17]
	v_add_f64 v[16:17], v[74:75], v[32:33]
	v_add_f64 v[174:175], v[157:158], v[38:39]
	v_add_f64 v[20:21], v[74:75], -v[32:33]
	v_add_f64 v[157:158], v[157:158], -v[38:39]
	v_mul_f64 v[26:27], v[72:73], s[0:1]
	v_mul_f64 v[32:33], v[18:19], -0.5
	v_mul_f64 v[38:39], v[62:63], s[4:5]
	v_mul_f64 v[74:75], v[12:13], -0.5
	v_mul_f64 v[176:177], v[126:127], s[0:1]
	v_mul_f64 v[178:179], v[100:101], -0.5
	v_mul_f64 v[180:181], v[122:123], s[4:5]
	v_mul_f64 v[182:183], v[112:113], -0.5
	v_mul_f64 v[184:185], v[132:133], s[0:1]
	v_mul_f64 v[194:195], v[98:99], -0.5
	v_fma_f64 v[42:43], v[234:235], -0.5, v[42:43]
	v_fma_f64 v[84:85], v[200:201], s[0:1], v[48:49]
	v_fma_f64 v[48:49], v[200:201], s[4:5], v[48:49]
	v_mul_f64 v[200:201], v[164:165], s[0:1]
	v_mul_f64 v[196:197], v[96:97], s[4:5]
	v_mul_f64 v[202:203], v[88:89], -0.5
	v_mul_f64 v[208:209], v[168:169], s[0:1]
	v_mul_f64 v[210:211], v[28:29], -0.5
	v_mul_f64 v[198:199], v[80:81], -0.5
	v_mul_f64 v[204:205], v[86:87], s[4:5]
	v_mul_f64 v[206:207], v[76:77], -0.5
	v_mul_f64 v[186:187], v[108:109], -0.5
	v_mul_f64 v[212:213], v[34:35], s[4:5]
	v_mul_f64 v[188:189], v[120:121], s[4:5]
	v_mul_f64 v[214:215], v[24:25], -0.5
	v_fma_f64 v[108:109], v[108:109], s[4:5], v[190:191]
	v_fma_f64 v[96:97], v[96:97], 0.5, v[192:193]
	v_add_f64 v[130:131], v[52:53], v[106:107]
	v_add_f64 v[106:107], v[52:53], -v[106:107]
	v_fma_f64 v[52:53], v[216:217], s[0:1], v[50:51]
	v_fma_f64 v[26:27], v[62:63], 0.5, v[26:27]
	v_fma_f64 v[12:13], v[12:13], s[0:1], v[32:33]
	v_fma_f64 v[32:33], v[72:73], 0.5, v[38:39]
	;; [unrolled: 2-line block ×5, first 2 shown]
	v_fma_f64 v[80:81], v[80:81], s[0:1], v[194:195]
	v_fma_f64 v[104:105], v[236:237], s[0:1], v[42:43]
	v_fma_f64 v[86:87], v[86:87], 0.5, v[200:201]
	v_fma_f64 v[42:43], v[236:237], s[4:5], v[42:43]
	v_fma_f64 v[102:103], v[102:103], 0.5, v[196:197]
	;; [unrolled: 2-line block ×3, first 2 shown]
	v_fma_f64 v[24:25], v[24:25], s[0:1], v[210:211]
	v_fma_f64 v[98:99], v[98:99], s[4:5], v[198:199]
	v_fma_f64 v[120:121], v[164:165], 0.5, v[204:205]
	v_fma_f64 v[88:89], v[88:89], s[4:5], v[206:207]
	v_fma_f64 v[50:51], v[216:217], s[4:5], v[50:51]
	;; [unrolled: 1-line block ×3, first 2 shown]
	v_fma_f64 v[122:123], v[168:169], 0.5, v[212:213]
	v_fma_f64 v[112:113], v[132:133], 0.5, v[188:189]
	v_fma_f64 v[28:29], v[28:29], s[4:5], v[214:215]
	v_add_f64 v[186:187], v[10:11], v[108:109]
	v_add_f64 v[108:109], v[10:11], -v[108:109]
	v_add_f64 v[10:11], v[66:67], v[96:97]
	v_add_f64 v[164:165], v[70:71], v[32:33]
	;; [unrolled: 1-line block ×3, first 2 shown]
	v_add_f64 v[176:177], v[70:71], -v[32:33]
	v_add_f64 v[178:179], v[6:7], -v[18:19]
	v_add_f64 v[6:7], v[84:85], v[38:39]
	v_add_f64 v[18:19], v[48:49], v[62:63]
	;; [unrolled: 1-line block ×4, first 2 shown]
	v_add_f64 v[32:33], v[84:85], -v[38:39]
	v_add_f64 v[38:39], v[48:49], -v[62:63]
	;; [unrolled: 1-line block ×4, first 2 shown]
	v_add_f64 v[8:9], v[52:53], v[100:101]
	v_add_f64 v[48:49], v[52:53], -v[100:101]
	v_add_f64 v[52:53], v[40:41], v[80:81]
	v_add_f64 v[126:127], v[60:61], v[26:27]
	v_add_f64 v[26:27], v[60:61], -v[26:27]
	v_add_f64 v[60:61], v[66:67], -v[96:97]
	;; [unrolled: 1-line block ×3, first 2 shown]
	v_add_f64 v[62:63], v[104:105], v[86:87]
	v_add_f64 v[132:133], v[46:47], v[12:13]
	v_add_f64 v[12:13], v[46:47], -v[12:13]
	v_add_f64 v[66:67], v[42:43], v[76:77]
	v_add_f64 v[42:43], v[42:43], -v[76:77]
	v_add_f64 v[72:73], v[36:37], v[34:35]
	v_add_f64 v[74:75], v[44:45], v[24:25]
	v_add_f64 v[34:35], v[36:37], -v[34:35]
	v_add_f64 v[24:25], v[44:45], -v[24:25]
	v_add_f64 v[76:77], v[54:55], v[102:103]
	v_add_f64 v[70:71], v[104:105], -v[86:87]
	v_add_f64 v[80:81], v[0:1], v[98:99]
	v_add_f64 v[86:87], v[54:55], -v[102:103]
	v_add_f64 v[96:97], v[0:1], -v[98:99]
	v_add_f64 v[98:99], v[155:156], v[120:121]
	v_add_f64 v[102:103], v[2:3], v[88:89]
	v_add_f64 v[46:47], v[50:51], v[110:111]
	v_add_f64 v[104:105], v[155:156], -v[120:121]
	v_add_f64 v[88:89], v[2:3], -v[88:89]
	;; [unrolled: 1-line block ×3, first 2 shown]
	v_add_f64 v[110:111], v[114:115], v[122:123]
	v_add_f64 v[184:185], v[116:117], v[112:113]
	v_add_f64 v[100:101], v[116:117], -v[112:113]
	v_add_f64 v[112:113], v[4:5], v[28:29]
	v_add_f64 v[114:115], v[114:115], -v[122:123]
	v_add_f64 v[116:117], v[4:5], -v[28:29]
	v_lshlrev_b32_sdwa v0, v246, v154 dst_sel:DWORD dst_unused:UNUSED_PAD src0_sel:DWORD src1_sel:WORD_0
	s_barrier
	buffer_gl0_inv
	ds_write2_b64 v247, v[68:69], v[10:11] offset1:10
	ds_write2_b64 v247, v[52:53], v[14:15] offset0:20 offset1:30
	ds_write2_b64 v247, v[60:61], v[40:41] offset0:40 offset1:50
	ds_write2_b64 v161, v[82:83], v[62:63] offset1:10
	ds_write2_b64 v161, v[66:67], v[58:59] offset0:20 offset1:30
	ds_write2_b64 v161, v[70:71], v[42:43] offset0:40 offset1:50
	ds_write2_b64 v252, v[30:31], v[72:73] offset1:10
	ds_write2_b64 v252, v[74:75], v[22:23] offset0:20 offset1:30
	v_add3_u32 v58, 0, v248, v250
	v_add3_u32 v59, 0, v249, v0
	ds_write2_b64 v252, v[34:35], v[24:25] offset0:40 offset1:50
	ds_write2_b64 v251, v[16:17], v[126:127] offset1:10
	ds_write2_b64 v251, v[132:133], v[20:21] offset0:20 offset1:30
	ds_write2_b64 v251, v[26:27], v[12:13] offset0:40 offset1:50
	ds_write2_b64 v58, v[128:129], v[6:7] offset1:10
	ds_write2_b64 v58, v[18:19], v[64:65] offset0:20 offset1:30
	;; [unrolled: 3-line block ×3, first 2 shown]
	ds_write2_b64 v59, v[48:49], v[50:51] offset0:40 offset1:50
	s_waitcnt lgkmcnt(0)
	s_barrier
	buffer_gl0_inv
	ds_read2_b64 v[8:11], v138 offset1:60
	ds_read2_b64 v[60:63], v139 offset0:104 offset1:164
	ds_read2_b64 v[64:67], v143 offset0:80 offset1:140
	;; [unrolled: 1-line block ×17, first 2 shown]
	s_waitcnt lgkmcnt(0)
	s_barrier
	buffer_gl0_inv
	ds_write2_b64 v247, v[90:91], v[76:77] offset1:10
	ds_write2_b64 v247, v[80:81], v[56:57] offset0:20 offset1:30
	ds_write2_b64 v247, v[86:87], v[96:97] offset0:40 offset1:50
	ds_write2_b64 v161, v[166:167], v[98:99] offset1:10
	ds_write2_b64 v161, v[102:103], v[78:79] offset0:20 offset1:30
	ds_write2_b64 v161, v[104:105], v[88:89] offset0:40 offset1:50
	;; [unrolled: 3-line block ×4, first 2 shown]
	ds_write2_b64 v58, v[130:131], v[180:181] offset1:10
	v_mul_u32_u24_e32 v56, 5, v160
	v_mul_lo_u16 v57, 0x89, v151
	ds_write2_b64 v58, v[182:183], v[106:107] offset0:20 offset1:30
	ds_write2_b64 v58, v[84:85], v[118:119] offset0:40 offset1:50
	ds_write2_b64 v59, v[134:135], v[184:185] offset1:10
	ds_write2_b64 v59, v[186:187], v[94:95] offset0:20 offset1:30
	ds_write2_b64 v59, v[100:101], v[108:109] offset0:40 offset1:50
	s_waitcnt lgkmcnt(0)
	v_lshlrev_b32_e32 v96, 4, v56
	v_mul_lo_u16 v56, 0x89, v153
	s_barrier
	buffer_gl0_inv
	v_lshrrev_b16 v57, 13, v57
	global_load_dwordx4 v[76:79], v96, s[8:9] offset:800
	v_lshrrev_b16 v56, 13, v56
	s_clause 0x1
	global_load_dwordx4 v[80:83], v96, s[8:9] offset:816
	global_load_dwordx4 v[84:87], v96, s[8:9] offset:832
	v_mul_lo_u16 v58, v57, 60
	s_clause 0x1
	global_load_dwordx4 v[88:91], v96, s[8:9] offset:848
	global_load_dwordx4 v[92:95], v96, s[8:9] offset:864
	v_mul_lo_u16 v56, v56, 60
	v_sub_nc_u16 v56, v152, v56
	v_and_b32_e32 v57, 0xff, v56
	v_sub_nc_u16 v56, v150, v58
	v_mul_u32_u24_e32 v58, 5, v57
	v_and_b32_e32 v56, 0xff, v56
	v_lshlrev_b32_e32 v59, 4, v58
	v_mul_u32_u24_e32 v58, 5, v56
	global_load_dwordx4 v[97:100], v59, s[8:9] offset:800
	v_lshlrev_b32_e32 v133, 4, v58
	v_mov_b32_e32 v58, 0x8889
	s_clause 0x1
	global_load_dwordx4 v[101:104], v133, s[8:9] offset:800
	global_load_dwordx4 v[105:108], v59, s[8:9] offset:816
	v_mul_u32_u24_sdwa v113, v136, v58 dst_sel:DWORD dst_unused:UNUSED_PAD src0_sel:WORD_0 src1_sel:DWORD
	global_load_dwordx4 v[109:112], v133, s[8:9] offset:816
	v_mul_u32_u24_sdwa v122, v137, v58 dst_sel:DWORD dst_unused:UNUSED_PAD src0_sel:WORD_0 src1_sel:DWORD
	v_lshrrev_b32_e32 v113, 21, v113
	v_lshrrev_b32_e32 v125, 21, v122
	v_mul_lo_u16 v117, v113, 60
	global_load_dwordx4 v[113:116], v59, s[8:9] offset:832
	v_mul_lo_u16 v135, v125, 60
	v_sub_nc_u16 v121, v136, v117
	global_load_dwordx4 v[117:120], v133, s[8:9] offset:832
	v_and_b32_e32 v58, 0xffff, v121
	s_clause 0x2
	global_load_dwordx4 v[121:124], v59, s[8:9] offset:848
	global_load_dwordx4 v[125:128], v59, s[8:9] offset:864
	global_load_dwordx4 v[129:132], v133, s[8:9] offset:848
	v_sub_nc_u16 v59, v137, v135
	v_mul_u32_u24_e32 v134, 5, v58
	v_and_b32_e32 v59, 0xffff, v59
	v_lshlrev_b32_e32 v134, 4, v134
	s_clause 0x1
	global_load_dwordx4 v[150:153], v133, s[8:9] offset:864
	global_load_dwordx4 v[154:157], v134, s[8:9] offset:800
	v_mul_u32_u24_e32 v133, 5, v59
	s_clause 0x2
	global_load_dwordx4 v[164:167], v134, s[8:9] offset:816
	global_load_dwordx4 v[168:171], v134, s[8:9] offset:832
	;; [unrolled: 1-line block ×3, first 2 shown]
	v_lshlrev_b32_e32 v133, 4, v133
	s_clause 0x5
	global_load_dwordx4 v[176:179], v134, s[8:9] offset:864
	global_load_dwordx4 v[180:183], v133, s[8:9] offset:800
	;; [unrolled: 1-line block ×6, first 2 shown]
	ds_read2_b64 v[200:203], v139 offset0:104 offset1:164
	ds_read2_b64 v[204:207], v143 offset0:80 offset1:140
	;; [unrolled: 1-line block ×5, first 2 shown]
	ds_read2_b64 v[220:223], v138 offset1:60
	ds_read2_b64 v[224:227], v138 offset0:120 offset1:180
	ds_read2_b64 v[228:231], v140 offset0:96 offset1:156
	s_waitcnt vmcnt(24) lgkmcnt(7)
	v_mul_f64 v[133:134], v[200:201], v[78:79]
	v_mul_f64 v[158:159], v[202:203], v[78:79]
	v_mul_f64 v[232:233], v[60:61], v[78:79]
	v_mul_f64 v[78:79], v[62:63], v[78:79]
	s_waitcnt vmcnt(23) lgkmcnt(6)
	v_mul_f64 v[234:235], v[204:205], v[82:83]
	v_mul_f64 v[236:237], v[206:207], v[82:83]
	v_mul_f64 v[238:239], v[64:65], v[82:83]
	v_mul_f64 v[82:83], v[66:67], v[82:83]
	;; [unrolled: 5-line block ×3, first 2 shown]
	s_waitcnt vmcnt(21) lgkmcnt(4)
	v_mul_f64 v[246:247], v[212:213], v[90:91]
	v_fma_f64 v[133:134], v[60:61], v[76:77], -v[133:134]
	v_fma_f64 v[158:159], v[62:63], v[76:77], -v[158:159]
	v_fma_f64 v[200:201], v[200:201], v[76:77], v[232:233]
	v_fma_f64 v[202:203], v[202:203], v[76:77], v[78:79]
	v_mul_f64 v[76:77], v[214:215], v[90:91]
	v_mul_f64 v[78:79], v[72:73], v[90:91]
	;; [unrolled: 1-line block ×3, first 2 shown]
	ds_read2_b64 v[60:63], v145 offset0:72 offset1:132
	v_fma_f64 v[232:233], v[64:65], v[80:81], -v[234:235]
	v_fma_f64 v[234:235], v[66:67], v[80:81], -v[236:237]
	s_waitcnt vmcnt(20) lgkmcnt(4)
	v_mul_f64 v[236:237], v[216:217], v[94:95]
	v_fma_f64 v[204:205], v[204:205], v[80:81], v[238:239]
	v_fma_f64 v[206:207], v[206:207], v[80:81], v[82:83]
	v_mul_f64 v[80:81], v[218:219], v[94:95]
	v_mul_f64 v[82:83], v[52:53], v[94:95]
	;; [unrolled: 1-line block ×3, first 2 shown]
	s_waitcnt vmcnt(19) lgkmcnt(1)
	v_mul_f64 v[238:239], v[228:229], v[99:100]
	v_fma_f64 v[240:241], v[68:69], v[84:85], -v[240:241]
	v_fma_f64 v[244:245], v[70:71], v[84:85], -v[244:245]
	v_mul_f64 v[99:100], v[48:49], v[99:100]
	v_fma_f64 v[208:209], v[208:209], v[84:85], v[242:243]
	v_fma_f64 v[210:211], v[210:211], v[84:85], v[86:87]
	s_waitcnt vmcnt(18)
	v_mul_f64 v[84:85], v[230:231], v[103:104]
	v_mul_f64 v[86:87], v[50:51], v[103:104]
	v_fma_f64 v[103:104], v[72:73], v[88:89], -v[246:247]
	ds_read2_b64 v[64:67], v142 offset0:176 offset1:236
	v_fma_f64 v[242:243], v[74:75], v[88:89], -v[76:77]
	s_waitcnt vmcnt(17) lgkmcnt(1)
	v_mul_f64 v[246:247], v[60:61], v[107:108]
	v_fma_f64 v[212:213], v[212:213], v[88:89], v[78:79]
	v_fma_f64 v[88:89], v[214:215], v[88:89], v[90:91]
	v_mul_f64 v[90:91], v[44:45], v[107:108]
	s_waitcnt vmcnt(16)
	v_mul_f64 v[107:108], v[62:63], v[111:112]
	v_mul_f64 v[111:112], v[46:47], v[111:112]
	ds_read2_b64 v[68:71], v148 offset0:24 offset1:84
	ds_read2_b64 v[72:75], v144 offset0:128 offset1:188
	v_fma_f64 v[214:215], v[52:53], v[92:93], -v[236:237]
	v_fma_f64 v[236:237], v[54:55], v[92:93], -v[80:81]
	v_fma_f64 v[216:217], v[216:217], v[92:93], v[82:83]
	v_fma_f64 v[92:93], v[218:219], v[92:93], v[94:95]
	v_fma_f64 v[218:219], v[48:49], v[97:98], -v[238:239]
	ds_read2_b64 v[76:79], v147 offset0:88 offset1:148
	v_fma_f64 v[97:98], v[228:229], v[97:98], v[99:100]
	ds_read2_b64 v[52:55], v145 offset0:192 offset1:252
	ds_read2_b64 v[80:83], v141 offset0:40 offset1:100
	v_fma_f64 v[228:229], v[50:51], v[101:102], -v[84:85]
	s_waitcnt vmcnt(15) lgkmcnt(5)
	v_mul_f64 v[94:95], v[64:65], v[115:116]
	v_mul_f64 v[115:116], v[40:41], v[115:116]
	s_waitcnt vmcnt(14)
	v_mul_f64 v[99:100], v[66:67], v[119:120]
	v_fma_f64 v[101:102], v[230:231], v[101:102], v[86:87]
	v_mul_f64 v[119:120], v[42:43], v[119:120]
	v_fma_f64 v[44:45], v[44:45], v[105:106], -v[246:247]
	ds_read2_b64 v[48:51], v148 offset0:144 offset1:204
	v_fma_f64 v[60:61], v[60:61], v[105:106], v[90:91]
	s_waitcnt vmcnt(13) lgkmcnt(5)
	v_mul_f64 v[230:231], v[68:69], v[123:124]
	v_mul_f64 v[90:91], v[36:37], v[123:124]
	s_waitcnt vmcnt(12) lgkmcnt(4)
	v_mul_f64 v[105:106], v[72:73], v[127:128]
	v_fma_f64 v[46:47], v[46:47], v[109:110], -v[107:108]
	v_mul_f64 v[107:108], v[32:33], v[127:128]
	s_waitcnt vmcnt(11)
	v_mul_f64 v[123:124], v[70:71], v[131:132]
	v_fma_f64 v[62:63], v[62:63], v[109:110], v[111:112]
	v_mul_f64 v[109:110], v[38:39], v[131:132]
	s_waitcnt vmcnt(10)
	v_mul_f64 v[127:128], v[34:35], v[152:153]
	ds_read2_b64 v[84:87], v149 offset0:120 offset1:180
	v_mul_f64 v[111:112], v[74:75], v[152:153]
	s_waitcnt vmcnt(9) lgkmcnt(4)
	v_mul_f64 v[131:132], v[76:77], v[156:157]
	s_waitcnt vmcnt(6)
	v_mul_f64 v[152:153], v[16:17], v[174:175]
	v_fma_f64 v[40:41], v[40:41], v[113:114], -v[94:95]
	v_fma_f64 v[64:65], v[64:65], v[113:114], v[115:116]
	v_mul_f64 v[94:95], v[28:29], v[156:157]
	s_waitcnt lgkmcnt(3)
	v_mul_f64 v[113:114], v[52:53], v[166:167]
	v_fma_f64 v[42:43], v[42:43], v[117:118], -v[99:100]
	v_mul_f64 v[99:100], v[24:25], v[166:167]
	s_waitcnt lgkmcnt(2)
	v_mul_f64 v[115:116], v[80:81], v[170:171]
	v_fma_f64 v[66:67], v[66:67], v[117:118], v[119:120]
	v_mul_f64 v[117:118], v[20:21], v[170:171]
	s_waitcnt lgkmcnt(1)
	v_mul_f64 v[119:120], v[48:49], v[174:175]
	v_fma_f64 v[36:37], v[36:37], v[121:122], -v[230:231]
	v_fma_f64 v[68:69], v[68:69], v[121:122], v[90:91]
	s_waitcnt vmcnt(5)
	v_mul_f64 v[90:91], v[12:13], v[178:179]
	s_waitcnt vmcnt(4)
	v_mul_f64 v[121:122], v[78:79], v[182:183]
	v_fma_f64 v[38:39], v[38:39], v[129:130], -v[123:124]
	s_waitcnt lgkmcnt(0)
	v_mul_f64 v[156:157], v[84:85], v[178:179]
	v_mul_f64 v[123:124], v[30:31], v[182:183]
	s_waitcnt vmcnt(3)
	v_mul_f64 v[166:167], v[54:55], v[186:187]
	v_fma_f64 v[70:71], v[70:71], v[129:130], v[109:110]
	v_mul_f64 v[109:110], v[26:27], v[186:187]
	s_waitcnt vmcnt(2)
	v_mul_f64 v[129:130], v[82:83], v[190:191]
	v_mul_f64 v[170:171], v[22:23], v[190:191]
	s_waitcnt vmcnt(1)
	v_mul_f64 v[174:175], v[50:51], v[194:195]
	v_fma_f64 v[105:106], v[32:33], v[125:126], -v[105:106]
	v_fma_f64 v[72:73], v[72:73], v[125:126], v[107:108]
	v_mul_f64 v[107:108], v[18:19], v[194:195]
	s_waitcnt vmcnt(0)
	v_mul_f64 v[125:126], v[86:87], v[198:199]
	v_mul_f64 v[178:179], v[14:15], v[198:199]
	v_fma_f64 v[74:75], v[74:75], v[150:151], v[127:128]
	v_fma_f64 v[111:112], v[34:35], v[150:151], -v[111:112]
	v_fma_f64 v[28:29], v[28:29], v[154:155], -v[131:132]
	v_fma_f64 v[76:77], v[76:77], v[154:155], v[94:95]
	v_fma_f64 v[24:25], v[24:25], v[164:165], -v[113:114]
	v_fma_f64 v[52:53], v[52:53], v[164:165], v[99:100]
	;; [unrolled: 2-line block ×10, first 2 shown]
	v_add_f64 v[90:91], v[8:9], v[232:233]
	v_add_f64 v[94:95], v[232:233], v[103:104]
	;; [unrolled: 1-line block ×6, first 2 shown]
	v_add_f64 v[119:120], v[208:209], -v[216:217]
	v_add_f64 v[121:122], v[200:201], v[208:209]
	v_add_f64 v[123:124], v[208:209], v[216:217]
	;; [unrolled: 1-line block ×4, first 2 shown]
	v_add_f64 v[131:132], v[206:207], -v[88:89]
	v_add_f64 v[150:151], v[222:223], v[206:207]
	v_add_f64 v[152:153], v[206:207], v[88:89]
	;; [unrolled: 1-line block ×6, first 2 shown]
	v_add_f64 v[178:179], v[60:61], -v[68:69]
	v_add_f64 v[180:181], v[224:225], v[60:61]
	v_add_f64 v[60:61], v[60:61], v[68:69]
	;; [unrolled: 1-line block ×4, first 2 shown]
	v_add_f64 v[186:187], v[64:65], -v[72:73]
	v_add_f64 v[188:189], v[97:98], v[64:65]
	v_add_f64 v[64:65], v[64:65], v[72:73]
	v_add_f64 v[194:195], v[62:63], -v[70:71]
	v_add_f64 v[196:197], v[226:227], v[62:63]
	v_add_f64 v[62:63], v[62:63], v[70:71]
	;; [unrolled: 3-line block ×3, first 2 shown]
	v_add_f64 v[99:100], v[204:205], -v[212:213]
	v_add_f64 v[113:114], v[232:233], -v[103:104]
	;; [unrolled: 1-line block ×6, first 2 shown]
	v_add_f64 v[176:177], v[44:45], v[36:37]
	v_add_f64 v[44:45], v[44:45], -v[36:37]
	v_add_f64 v[40:41], v[40:41], -v[105:106]
	v_add_f64 v[190:191], v[6:7], v[46:47]
	v_add_f64 v[192:193], v[46:47], v[38:39]
	v_add_f64 v[46:47], v[46:47], -v[38:39]
	v_add_f64 v[198:199], v[228:229], v[42:43]
	v_add_f64 v[204:205], v[42:43], v[111:112]
	;; [unrolled: 3-line block ×3, first 2 shown]
	v_add_f64 v[115:116], v[115:116], v[214:215]
	v_fma_f64 v[8:9], v[94:95], -0.5, v[8:9]
	v_fma_f64 v[94:95], v[109:110], -0.5, v[220:221]
	;; [unrolled: 1-line block ×3, first 2 shown]
	v_add_f64 v[117:118], v[121:122], v[216:217]
	v_fma_f64 v[121:122], v[123:124], -0.5, v[200:201]
	v_add_f64 v[123:124], v[127:128], v[242:243]
	v_fma_f64 v[10:11], v[129:130], -0.5, v[10:11]
	;; [unrolled: 2-line block ×4, first 2 shown]
	v_fma_f64 v[150:151], v[170:171], -0.5, v[202:203]
	v_add_f64 v[36:37], v[174:175], v[36:37]
	v_fma_f64 v[60:61], v[60:61], -0.5, v[224:225]
	v_add_f64 v[105:106], v[182:183], v[105:106]
	v_fma_f64 v[152:153], v[184:185], -0.5, v[218:219]
	v_fma_f64 v[64:65], v[64:65], -0.5, v[97:98]
	;; [unrolled: 1-line block ×4, first 2 shown]
	ds_read2_b64 v[32:35], v146 offset0:112 offset1:172
	v_add_f64 v[168:169], v[202:203], v[210:211]
	v_add_f64 v[232:233], v[52:53], -v[48:49]
	v_add_f64 v[240:241], v[20:21], v[12:13]
	v_add_f64 v[244:245], v[80:81], -v[84:85]
	v_add_f64 v[246:247], v[76:77], v[80:81]
	v_add_f64 v[80:81], v[80:81], v[84:85]
	;; [unrolled: 1-line block ×4, first 2 shown]
	v_fma_f64 v[6:7], v[192:193], -0.5, v[6:7]
	v_add_f64 v[97:98], v[198:199], v[111:112]
	v_fma_f64 v[111:112], v[204:205], -0.5, v[228:229]
	v_fma_f64 v[101:102], v[99:100], s[0:1], v[8:9]
	v_fma_f64 v[8:9], v[99:100], s[4:5], v[8:9]
	;; [unrolled: 1-line block ×8, first 2 shown]
	s_waitcnt lgkmcnt(0)
	v_add_f64 v[234:235], v[32:33], v[52:53]
	v_add_f64 v[52:53], v[52:53], v[48:49]
	;; [unrolled: 1-line block ×4, first 2 shown]
	v_add_f64 v[90:91], v[90:91], -v[115:116]
	v_add_f64 v[107:108], v[107:108], -v[117:118]
	v_fma_f64 v[115:116], v[131:132], s[0:1], v[10:11]
	v_fma_f64 v[10:11], v[131:132], s[4:5], v[10:11]
	;; [unrolled: 1-line block ×7, first 2 shown]
	v_add_f64 v[158:159], v[123:124], v[129:130]
	v_add_f64 v[123:124], v[123:124], -v[129:130]
	v_fma_f64 v[129:130], v[44:45], s[4:5], v[60:61]
	v_fma_f64 v[44:45], v[44:45], s[0:1], v[60:61]
	;; [unrolled: 1-line block ×6, first 2 shown]
	v_add_f64 v[64:65], v[36:37], v[105:106]
	v_add_f64 v[36:37], v[36:37], -v[105:106]
	v_fma_f64 v[105:106], v[46:47], s[4:5], v[62:63]
	v_fma_f64 v[46:47], v[46:47], s[0:1], v[62:63]
	;; [unrolled: 1-line block ×3, first 2 shown]
	v_add_f64 v[252:253], v[22:23], v[14:15]
	v_add_f64 v[212:213], v[82:83], v[86:87]
	;; [unrolled: 1-line block ×3, first 2 shown]
	v_add_f64 v[20:21], v[20:21], -v[12:13]
	v_add_f64 v[92:93], v[168:169], v[92:93]
	v_fma_f64 v[4:5], v[176:177], -0.5, v[4:5]
	v_add_f64 v[38:39], v[190:191], v[38:39]
	v_fma_f64 v[32:33], v[52:53], -0.5, v[32:33]
	v_fma_f64 v[28:29], v[240:241], -0.5, v[28:29]
	;; [unrolled: 1-line block ×3, first 2 shown]
	v_fma_f64 v[150:151], v[172:173], s[0:1], v[150:151]
	v_add_f64 v[168:169], v[68:69], v[72:73]
	v_add_f64 v[72:73], v[68:69], -v[72:73]
	v_fma_f64 v[68:69], v[194:195], s[0:1], v[6:7]
	v_fma_f64 v[6:7], v[194:195], s[4:5], v[6:7]
	;; [unrolled: 1-line block ×5, first 2 shown]
	v_mul_f64 v[66:67], v[119:120], s[0:1]
	v_mul_f64 v[172:173], v[109:110], -0.5
	v_mul_f64 v[176:177], v[121:122], -0.5
	v_mul_f64 v[182:183], v[154:155], s[0:1]
	v_mul_f64 v[184:185], v[133:134], -0.5
	v_mul_f64 v[194:195], v[152:153], -0.5
	v_mul_f64 v[200:201], v[62:63], s[0:1]
	v_add_f64 v[103:104], v[82:83], -v[86:87]
	v_add_f64 v[214:215], v[22:23], -v[14:15]
	v_fma_f64 v[76:77], v[252:253], -0.5, v[30:31]
	v_fma_f64 v[80:81], v[212:213], -0.5, v[78:79]
	v_add_f64 v[230:231], v[24:25], v[16:17]
	v_add_f64 v[164:165], v[88:89], v[92:93]
	v_add_f64 v[88:89], v[88:89], -v[92:93]
	v_fma_f64 v[92:93], v[178:179], s[0:1], v[4:5]
	v_fma_f64 v[4:5], v[178:179], s[4:5], v[4:5]
	v_mul_f64 v[174:175], v[113:114], s[4:5]
	v_add_f64 v[178:179], v[38:39], v[97:98]
	v_add_f64 v[38:39], v[38:39], -v[97:98]
	v_fma_f64 v[97:98], v[244:245], s[0:1], v[28:29]
	v_mul_f64 v[186:187], v[131:132], s[4:5]
	v_fma_f64 v[28:29], v[244:245], s[4:5], v[28:29]
	v_fma_f64 v[190:191], v[20:21], s[4:5], v[52:53]
	v_mul_f64 v[198:199], v[40:41], -0.5
	v_mul_f64 v[204:205], v[111:112], s[4:5]
	v_fma_f64 v[66:67], v[113:114], 0.5, v[66:67]
	v_fma_f64 v[113:114], v[121:122], s[0:1], v[172:173]
	v_fma_f64 v[109:110], v[109:110], s[4:5], v[176:177]
	v_fma_f64 v[121:122], v[131:132], 0.5, v[182:183]
	v_fma_f64 v[131:132], v[150:151], s[0:1], v[184:185]
	v_fma_f64 v[40:41], v[40:41], s[0:1], v[194:195]
	v_fma_f64 v[111:112], v[111:112], 0.5, v[200:201]
	v_add_f64 v[248:249], v[26:27], v[18:19]
	v_mul_f64 v[188:189], v[150:151], -0.5
	v_mul_f64 v[192:193], v[166:167], s[0:1]
	v_fma_f64 v[20:21], v[20:21], s[0:1], v[52:53]
	v_fma_f64 v[52:53], v[103:104], s[0:1], v[76:77]
	;; [unrolled: 1-line block ×4, first 2 shown]
	v_add_f64 v[70:71], v[196:197], v[70:71]
	v_mul_f64 v[196:197], v[60:61], s[4:5]
	v_add_f64 v[210:211], v[0:1], v[24:25]
	v_add_f64 v[24:25], v[24:25], -v[16:17]
	v_add_f64 v[250:251], v[54:55], v[50:51]
	v_fma_f64 v[0:1], v[230:231], -0.5, v[0:1]
	v_mul_f64 v[202:203], v[170:171], -0.5
	v_mul_f64 v[206:207], v[42:43], -0.5
	v_fma_f64 v[150:151], v[154:155], 0.5, v[186:187]
	v_fma_f64 v[80:81], v[214:215], s[0:1], v[80:81]
	v_mul_f64 v[154:155], v[190:191], s[0:1]
	v_add_f64 v[182:183], v[94:95], v[109:110]
	v_add_f64 v[94:95], v[94:95], -v[109:110]
	v_add_f64 v[109:110], v[10:11], v[131:132]
	v_add_f64 v[10:11], v[10:11], -v[131:132]
	;; [unrolled: 2-line block ×4, first 2 shown]
	v_mul_f64 v[111:112], v[28:29], -0.5
	v_fma_f64 v[133:134], v[133:134], s[4:5], v[188:189]
	v_fma_f64 v[60:61], v[60:61], 0.5, v[192:193]
	v_mul_f64 v[186:187], v[20:21], -0.5
	v_add_f64 v[188:189], v[2:3], v[26:27]
	v_fma_f64 v[2:3], v[248:249], -0.5, v[2:3]
	v_add_f64 v[192:193], v[54:55], -v[50:51]
	v_add_f64 v[22:23], v[30:31], v[22:23]
	v_mul_f64 v[30:31], v[103:104], s[0:1]
	v_fma_f64 v[166:167], v[166:167], 0.5, v[196:197]
	v_mul_f64 v[196:197], v[76:77], -0.5
	v_fma_f64 v[119:120], v[119:120], 0.5, v[174:175]
	v_add_f64 v[16:17], v[210:211], v[16:17]
	v_fma_f64 v[152:153], v[152:153], s[4:5], v[198:199]
	v_fma_f64 v[42:43], v[42:43], s[0:1], v[202:203]
	v_fma_f64 v[62:63], v[62:63], 0.5, v[204:205]
	v_fma_f64 v[170:171], v[170:171], s[4:5], v[206:207]
	v_add_f64 v[54:55], v[34:35], v[54:55]
	v_fma_f64 v[34:35], v[250:251], -0.5, v[34:35]
	v_add_f64 v[26:27], v[26:27], -v[18:19]
	v_fma_f64 v[194:195], v[232:233], s[0:1], v[0:1]
	v_add_f64 v[78:79], v[78:79], v[82:83]
	v_mul_f64 v[82:83], v[52:53], s[4:5]
	v_mul_f64 v[198:199], v[80:81], -0.5
	v_fma_f64 v[0:1], v[232:233], s[4:5], v[0:1]
	v_fma_f64 v[200:201], v[24:25], s[4:5], v[32:33]
	;; [unrolled: 1-line block ×3, first 2 shown]
	v_add_f64 v[12:13], v[238:239], v[12:13]
	v_fma_f64 v[32:33], v[97:98], 0.5, v[154:155]
	v_fma_f64 v[20:21], v[20:21], s[0:1], v[111:112]
	v_fma_f64 v[28:29], v[28:29], s[4:5], v[186:187]
	v_add_f64 v[18:19], v[188:189], v[18:19]
	v_fma_f64 v[111:112], v[192:193], s[0:1], v[2:3]
	v_add_f64 v[14:15], v[22:23], v[14:15]
	v_fma_f64 v[22:23], v[52:53], 0.5, v[30:31]
	v_fma_f64 v[2:3], v[192:193], s[4:5], v[2:3]
	v_fma_f64 v[30:31], v[80:81], s[0:1], v[196:197]
	v_add_f64 v[172:173], v[101:102], v[66:67]
	v_add_f64 v[174:175], v[8:9], v[113:114]
	v_add_f64 v[66:67], v[101:102], -v[66:67]
	v_add_f64 v[8:9], v[8:9], -v[113:114]
	v_add_f64 v[101:102], v[115:116], v[121:122]
	v_add_f64 v[176:177], v[99:100], v[119:120]
	v_add_f64 v[99:100], v[99:100], -v[119:120]
	v_add_f64 v[119:120], v[127:128], v[133:134]
	v_add_f64 v[115:116], v[115:116], -v[121:122]
	v_add_f64 v[121:122], v[127:128], -v[133:134]
	v_add_f64 v[127:128], v[92:93], v[60:61]
	v_add_f64 v[60:61], v[92:93], -v[60:61]
	v_add_f64 v[74:75], v[208:209], v[74:75]
	v_add_f64 v[113:114], v[117:118], v[150:151]
	v_add_f64 v[117:118], v[117:118], -v[150:151]
	v_add_f64 v[133:134], v[129:130], v[166:167]
	v_add_f64 v[150:151], v[44:45], v[152:153]
	v_add_f64 v[92:93], v[129:130], -v[166:167]
	v_add_f64 v[129:130], v[44:45], -v[152:153]
	v_add_f64 v[44:45], v[6:7], v[42:43]
	v_add_f64 v[152:153], v[105:106], v[62:63]
	;; [unrolled: 1-line block ×3, first 2 shown]
	v_mul_f64 v[184:185], v[97:98], s[4:5]
	v_add_f64 v[48:49], v[234:235], v[48:49]
	v_add_f64 v[84:85], v[246:247], v[84:85]
	;; [unrolled: 1-line block ×3, first 2 shown]
	v_fma_f64 v[54:55], v[26:27], s[4:5], v[34:35]
	v_fma_f64 v[26:27], v[26:27], s[0:1], v[34:35]
	v_add_f64 v[34:35], v[78:79], v[86:87]
	v_fma_f64 v[52:53], v[103:104], 0.5, v[82:83]
	v_fma_f64 v[76:77], v[76:77], s[4:5], v[198:199]
	v_add_f64 v[6:7], v[6:7], -v[42:43]
	v_add_f64 v[78:79], v[105:106], -v[62:63]
	;; [unrolled: 1-line block ×3, first 2 shown]
	v_add_f64 v[42:43], v[16:17], v[12:13]
	v_add_f64 v[46:47], v[194:195], v[32:33]
	;; [unrolled: 1-line block ×3, first 2 shown]
	v_add_f64 v[12:13], v[16:17], -v[12:13]
	v_add_f64 v[16:17], v[194:195], -v[32:33]
	;; [unrolled: 1-line block ×3, first 2 shown]
	v_add_f64 v[103:104], v[24:25], v[28:29]
	v_add_f64 v[105:106], v[24:25], -v[28:29]
	v_add_f64 v[20:21], v[18:19], v[14:15]
	v_add_f64 v[24:25], v[111:112], v[22:23]
	;; [unrolled: 1-line block ×3, first 2 shown]
	v_add_f64 v[14:15], v[18:19], -v[14:15]
	v_add_f64 v[18:19], v[111:112], -v[22:23]
	;; [unrolled: 1-line block ×3, first 2 shown]
	v_lshl_add_u32 v22, v57, 3, 0
	s_barrier
	buffer_gl0_inv
	ds_write2_b64 v138, v[125:126], v[172:173] offset1:60
	ds_write2_b64 v138, v[174:175], v[90:91] offset0:120 offset1:180
	ds_write2_b64 v146, v[66:67], v[8:9] offset0:112 offset1:172
	;; [unrolled: 1-line block ×3, first 2 shown]
	v_lshl_add_u32 v8, v56, 3, 0
	v_add_nc_u32_e32 v90, 0x1400, v22
	v_add_nc_u32_e32 v91, 0x1800, v22
	v_lshl_add_u32 v9, v58, 3, 0
	ds_write2_b64 v140, v[109:110], v[123:124] offset0:96 offset1:156
	ds_write2_b64 v147, v[115:116], v[10:11] offset0:88 offset1:148
	v_add_nc_u32_e32 v101, 0x2000, v8
	ds_write2_b64 v90, v[64:65], v[127:128] offset0:80 offset1:140
	ds_write2_b64 v91, v[131:132], v[36:37] offset0:72 offset1:132
	ds_write2_b64 v91, v[60:61], v[4:5] offset0:192 offset1:252
	ds_write2_b64 v101, v[178:179], v[40:41] offset0:56 offset1:116
	v_lshl_add_u32 v4, v59, 3, 0
	v_add_nc_u32_e32 v102, 0x2800, v8
	v_add_nc_u32_e32 v109, 0x2800, v9
	;; [unrolled: 1-line block ×3, first 2 shown]
	v_add_f64 v[180:181], v[70:71], v[74:75]
	v_add_nc_u32_e32 v115, 0x3800, v4
	v_add_nc_u32_e32 v116, 0x3c00, v4
	v_fma_f64 v[97:98], v[190:191], 0.5, v[184:185]
	v_add_f64 v[74:75], v[70:71], -v[74:75]
	v_add_f64 v[82:83], v[48:49], v[84:85]
	v_add_f64 v[84:85], v[48:49], -v[84:85]
	v_add_f64 v[154:155], v[50:51], v[34:35]
	v_add_f64 v[170:171], v[54:55], v[52:53]
	;; [unrolled: 1-line block ×3, first 2 shown]
	v_add_f64 v[111:112], v[50:51], -v[34:35]
	v_add_f64 v[186:187], v[54:55], -v[52:53]
	;; [unrolled: 1-line block ×3, first 2 shown]
	ds_write2_b64 v101, v[44:45], v[38:39] offset0:176 offset1:236
	ds_write2_b64 v102, v[68:69], v[6:7] offset0:40 offset1:100
	;; [unrolled: 1-line block ×8, first 2 shown]
	s_waitcnt lgkmcnt(0)
	s_barrier
	buffer_gl0_inv
	ds_read2_b64 v[0:3], v138 offset1:60
	ds_read2_b64 v[16:19], v139 offset0:104 offset1:164
	ds_read2_b64 v[12:15], v143 offset0:80 offset1:140
	;; [unrolled: 1-line block ×17, first 2 shown]
	s_waitcnt lgkmcnt(0)
	s_barrier
	buffer_gl0_inv
	v_add_f64 v[86:87], v[200:201], v[97:98]
	v_add_f64 v[97:98], v[200:201], -v[97:98]
	ds_write2_b64 v138, v[156:157], v[176:177] offset1:60
	ds_write2_b64 v138, v[182:183], v[107:108] offset0:120 offset1:180
	ds_write2_b64 v146, v[99:100], v[94:95] offset0:112 offset1:172
	;; [unrolled: 1-line block ×17, first 2 shown]
	s_waitcnt lgkmcnt(0)
	s_barrier
	buffer_gl0_inv
	s_and_saveexec_b32 s6, vcc_lo
	s_cbranch_execz .LBB0_19
; %bb.18:
	v_mul_u32_u24_e32 v72, 5, v137
	v_mov_b32_e32 v109, 0
	v_mad_u32_u24 v108, v137, 5, 0xfffffed4
	v_add_nc_u32_e32 v161, 0x2800, v138
	v_add_nc_u32_e32 v216, 0x3c00, v138
	v_lshlrev_b32_e32 v74, 4, v72
	v_add_nc_u32_e32 v220, 0x1000, v138
	v_lshlrev_b64 v[72:73], 4, v[108:109]
	v_mad_u32_u24 v108, v137, 5, 0xfffffda8
	v_add_nc_u32_e32 v251, 0x2000, v138
	v_add_co_u32 v78, s6, s8, v74
	v_add_co_ci_u32_e64 v79, null, s9, 0, s6
	v_add_co_u32 v82, vcc_lo, s8, v72
	v_add_co_ci_u32_e32 v83, vcc_lo, s9, v73, vcc_lo
	v_add_co_u32 v76, vcc_lo, 0x15e0, v78
	v_add_co_ci_u32_e32 v77, vcc_lo, 0, v79, vcc_lo
	;; [unrolled: 2-line block ×3, first 2 shown]
	s_clause 0x3
	global_load_dwordx4 v[72:75], v[76:77], off offset:16
	global_load_dwordx4 v[92:95], v[80:81], off offset:16
	;; [unrolled: 1-line block ×4, first 2 shown]
	v_add_co_u32 v110, vcc_lo, 0x1000, v78
	v_add_co_ci_u32_e32 v111, vcc_lo, 0, v79, vcc_lo
	v_add_co_u32 v100, vcc_lo, 0x1000, v82
	v_add_co_ci_u32_e32 v101, vcc_lo, 0, v83, vcc_lo
	s_clause 0x1
	global_load_dwordx4 v[76:79], v[76:77], off offset:32
	global_load_dwordx4 v[80:83], v[80:81], off offset:32
	v_add_co_u32 v112, s6, s8, v96
	s_clause 0x2
	global_load_dwordx4 v[104:107], v[110:111], off offset:1568
	global_load_dwordx4 v[96:99], v[100:101], off offset:1504
	;; [unrolled: 1-line block ×3, first 2 shown]
	v_add_co_ci_u32_e64 v113, null, s9, 0, s6
	v_add_co_u32 v134, vcc_lo, 0x15e0, v112
	v_lshlrev_b64 v[128:129], 4, v[108:109]
	v_add_co_ci_u32_e32 v135, vcc_lo, 0, v113, vcc_lo
	v_add_co_u32 v126, vcc_lo, 0x1000, v112
	v_add_co_ci_u32_e32 v127, vcc_lo, 0, v113, vcc_lo
	v_add_co_u32 v128, vcc_lo, s8, v128
	v_add_co_ci_u32_e32 v129, vcc_lo, s9, v129, vcc_lo
	v_mad_u32_u24 v108, v137, 5, 0xfffffc7c
	v_add_co_u32 v153, vcc_lo, 0x1000, v128
	v_add_co_ci_u32_e32 v154, vcc_lo, 0, v129, vcc_lo
	v_lshlrev_b64 v[151:152], 4, v[108:109]
	v_add_co_u32 v147, vcc_lo, 0x15e0, v128
	v_mad_u32_u24 v108, v137, 5, 0xfffffb50
	s_clause 0x3
	global_load_dwordx4 v[114:117], v[110:111], off offset:1504
	global_load_dwordx4 v[110:113], v[134:135], off offset:48
	;; [unrolled: 1-line block ×4, first 2 shown]
	v_add_co_ci_u32_e32 v148, vcc_lo, 0, v129, vcc_lo
	global_load_dwordx4 v[126:129], v[126:127], off offset:1504
	v_lshlrev_b64 v[155:156], 4, v[108:109]
	v_add_co_u32 v108, vcc_lo, s8, v151
	v_add_co_ci_u32_e32 v157, vcc_lo, s9, v152, vcc_lo
	s_clause 0x3
	global_load_dwordx4 v[130:133], v[153:154], off offset:1504
	global_load_dwordx4 v[139:142], v[147:148], off offset:48
	;; [unrolled: 1-line block ×4, first 2 shown]
	v_add_co_u32 v168, vcc_lo, 0x15e0, v108
	v_add_co_ci_u32_e32 v169, vcc_lo, 0, v157, vcc_lo
	v_add_co_u32 v176, vcc_lo, 0x1000, v108
	v_add_co_ci_u32_e32 v177, vcc_lo, 0, v157, vcc_lo
	;; [unrolled: 2-line block ×3, first 2 shown]
	global_load_dwordx4 v[151:154], v[153:154], off offset:1568
	v_add_co_u32 v188, vcc_lo, 0x15e0, v108
	s_clause 0x1
	global_load_dwordx4 v[155:158], v[168:169], off offset:48
	global_load_dwordx4 v[164:167], v[168:169], off offset:16
	v_add_co_ci_u32_e32 v189, vcc_lo, 0, v159, vcc_lo
	s_clause 0x3
	global_load_dwordx4 v[168:171], v[168:169], off offset:32
	global_load_dwordx4 v[172:175], v[176:177], off offset:1568
	global_load_dwordx4 v[176:179], v[176:177], off offset:1504
	global_load_dwordx4 v[180:183], v[188:189], off offset:16
	v_add_co_u32 v196, vcc_lo, 0x1000, v108
	v_add_co_ci_u32_e32 v197, vcc_lo, 0, v159, vcc_lo
	s_clause 0x4
	global_load_dwordx4 v[184:187], v[188:189], off offset:48
	global_load_dwordx4 v[188:191], v[188:189], off offset:32
	global_load_dwordx4 v[192:195], v[196:197], off offset:1568
	global_load_dwordx4 v[196:199], v[196:197], off offset:1504
	global_load_dwordx4 v[200:203], v[134:135], off offset:16
	v_add_nc_u32_e32 v108, 0x1800, v138
	v_add_nc_u32_e32 v159, 0x3000, v138
	ds_read2_b64 v[212:215], v161 offset0:40 offset1:100
	ds_read2_b64 v[216:219], v216 offset0:120 offset1:180
	v_add_nc_u32_e32 v252, 0x3800, v138
	ds_read2_b64 v[204:207], v108 offset0:192 offset1:252
	ds_read2_b64 v[208:211], v159 offset0:144 offset1:204
	v_add_nc_u32_e32 v253, 0x800, v138
	v_add_nc_u32_e32 v250, 0xc00, v138
	;; [unrolled: 1-line block ×3, first 2 shown]
	s_waitcnt vmcnt(29) lgkmcnt(1)
	v_mul_f64 v[134:135], v[74:75], v[206:207]
	s_waitcnt vmcnt(28)
	v_mul_f64 v[234:235], v[94:95], v[204:205]
	v_mul_f64 v[236:237], v[92:93], v[204:205]
	;; [unrolled: 1-line block ×3, first 2 shown]
	s_waitcnt vmcnt(27) lgkmcnt(0)
	v_mul_f64 v[238:239], v[90:91], v[210:211]
	v_mul_f64 v[240:241], v[88:89], v[210:211]
	s_waitcnt vmcnt(26)
	v_mul_f64 v[242:243], v[86:87], v[208:209]
	v_mul_f64 v[244:245], v[84:85], v[208:209]
	ds_read2_b64 v[204:207], v138 offset0:120 offset1:180
	ds_read2_b64 v[208:211], v220 offset0:88 offset1:148
	;; [unrolled: 1-line block ×5, first 2 shown]
	v_mov_b32_e32 v161, v109
	v_or_b32_e32 v108, 0x780, v160
	s_waitcnt vmcnt(25)
	v_mul_f64 v[246:247], v[78:79], v[214:215]
	v_mul_f64 v[214:215], v[76:77], v[214:215]
	s_waitcnt vmcnt(24)
	v_mul_f64 v[248:249], v[82:83], v[212:213]
	v_mul_f64 v[212:213], v[80:81], v[212:213]
	v_fma_f64 v[134:135], v[70:71], v[72:73], -v[134:135]
	v_fma_f64 v[92:93], v[68:69], v[92:93], -v[234:235]
	v_fma_f64 v[94:95], v[68:69], v[94:95], v[236:237]
	s_waitcnt vmcnt(23)
	v_mul_f64 v[234:235], v[106:107], v[218:219]
	v_mul_f64 v[218:219], v[104:105], v[218:219]
	s_waitcnt vmcnt(21)
	v_mul_f64 v[236:237], v[102:103], v[216:217]
	v_mul_f64 v[216:217], v[100:101], v[216:217]
	v_fma_f64 v[232:233], v[70:71], v[74:75], v[232:233]
	ds_read2_b64 v[68:71], v251 offset0:56 offset1:116
	v_fma_f64 v[88:89], v[66:67], v[88:89], -v[238:239]
	v_fma_f64 v[90:91], v[66:67], v[90:91], v[240:241]
	ds_read2_b64 v[72:75], v252 offset0:8 offset1:68
	v_fma_f64 v[238:239], v[64:65], v[84:85], -v[242:243]
	v_fma_f64 v[240:241], v[64:65], v[86:87], v[244:245]
	ds_read2_b64 v[64:67], v253 offset0:104 offset1:164
	s_waitcnt lgkmcnt(6)
	v_mul_f64 v[244:245], v[98:99], v[208:209]
	v_mul_f64 v[208:209], v[96:97], v[208:209]
	ds_read2_b64 v[84:87], v250 offset0:96 offset1:156
	v_fma_f64 v[246:247], v[62:63], v[76:77], -v[246:247]
	s_waitcnt vmcnt(20)
	v_mul_f64 v[242:243], v[116:117], v[210:211]
	v_mul_f64 v[210:211], v[114:115], v[210:211]
	v_fma_f64 v[214:215], v[62:63], v[78:79], v[214:215]
	ds_read2_b64 v[76:79], v251 offset0:176 offset1:236
	v_fma_f64 v[248:249], v[60:61], v[80:81], -v[248:249]
	v_fma_f64 v[212:213], v[60:61], v[82:83], v[212:213]
	ds_read2_b64 v[60:63], v252 offset0:128 offset1:188
	s_waitcnt vmcnt(19) lgkmcnt(6)
	v_mul_f64 v[250:251], v[112:113], v[228:229]
	v_mul_f64 v[228:229], v[110:111], v[228:229]
	s_waitcnt vmcnt(18) lgkmcnt(5)
	v_mul_f64 v[252:253], v[120:121], v[68:69]
	v_fma_f64 v[104:105], v[58:59], v[104:105], -v[234:235]
	v_fma_f64 v[106:107], v[58:59], v[106:107], v[218:219]
	v_mul_f64 v[58:59], v[118:119], v[68:69]
	s_waitcnt vmcnt(17) lgkmcnt(4)
	v_mul_f64 v[68:69], v[124:125], v[72:73]
	v_fma_f64 v[102:103], v[56:57], v[102:103], v[216:217]
	v_mul_f64 v[72:73], v[122:123], v[72:73]
	s_waitcnt vmcnt(16) lgkmcnt(3)
	v_mul_f64 v[216:217], v[128:129], v[64:65]
	v_mul_f64 v[64:65], v[126:127], v[64:65]
	v_add_nc_u32_e32 v80, 0x1400, v138
	v_fma_f64 v[96:97], v[52:53], v[96:97], -v[244:245]
	v_fma_f64 v[52:53], v[52:53], v[98:99], v[208:209]
	s_waitcnt vmcnt(12)
	v_mul_f64 v[98:99], v[149:150], v[222:223]
	v_mul_f64 v[208:209], v[141:142], v[226:227]
	v_fma_f64 v[116:117], v[54:55], v[116:117], v[210:211]
	v_mul_f64 v[210:211], v[147:148], v[222:223]
	s_waitcnt lgkmcnt(2)
	v_mul_f64 v[218:219], v[132:133], v[86:87]
	s_waitcnt vmcnt(11) lgkmcnt(0)
	v_mul_f64 v[222:223], v[153:154], v[62:63]
	v_mul_f64 v[62:63], v[151:152], v[62:63]
	ds_read2_b64 v[80:83], v80 offset0:80 offset1:140
	v_fma_f64 v[110:111], v[28:29], v[110:111], -v[250:251]
	v_fma_f64 v[112:113], v[28:29], v[112:113], v[228:229]
	v_mul_f64 v[28:29], v[139:140], v[226:227]
	v_fma_f64 v[118:119], v[20:21], v[118:119], -v[252:253]
	v_fma_f64 v[100:101], v[56:57], v[100:101], -v[236:237]
	v_fma_f64 v[20:21], v[20:21], v[120:121], v[58:59]
	v_mul_f64 v[120:121], v[145:146], v[78:79]
	v_fma_f64 v[122:123], v[24:25], v[122:123], -v[68:69]
	v_fma_f64 v[124:125], v[24:25], v[124:125], v[72:73]
	v_mul_f64 v[24:25], v[143:144], v[78:79]
	v_fma_f64 v[68:69], v[16:17], v[126:127], -v[216:217]
	v_fma_f64 v[16:17], v[16:17], v[128:129], v[64:65]
	v_mul_f64 v[64:65], v[130:131], v[86:87]
	s_waitcnt vmcnt(9)
	v_mul_f64 v[72:73], v[166:167], v[220:221]
	v_mul_f64 v[78:79], v[164:165], v[220:221]
	s_waitcnt vmcnt(8)
	v_mul_f64 v[128:129], v[170:171], v[76:77]
	s_waitcnt vmcnt(7)
	v_mul_f64 v[216:217], v[174:175], v[60:61]
	v_mul_f64 v[76:77], v[168:169], v[76:77]
	;; [unrolled: 1-line block ×3, first 2 shown]
	v_fma_f64 v[114:115], v[54:55], v[114:115], -v[242:243]
	ds_read2_b64 v[54:57], v138 offset1:60
	v_mul_f64 v[86:87], v[157:158], v[224:225]
	v_mul_f64 v[126:127], v[155:156], v[224:225]
	s_waitcnt vmcnt(6)
	v_mul_f64 v[224:225], v[178:179], v[84:85]
	v_mul_f64 v[84:85], v[176:177], v[84:85]
	s_waitcnt vmcnt(5) lgkmcnt(1)
	v_mul_f64 v[226:227], v[182:183], v[82:83]
	v_fma_f64 v[98:99], v[46:47], v[147:148], -v[98:99]
	v_fma_f64 v[46:47], v[46:47], v[149:150], v[210:211]
	s_waitcnt vmcnt(4)
	v_mul_f64 v[147:148], v[186:187], v[230:231]
	v_mul_f64 v[82:83], v[180:181], v[82:83]
	v_mul_f64 v[149:150], v[184:185], v[230:231]
	s_waitcnt vmcnt(3)
	v_mul_f64 v[210:211], v[190:191], v[70:71]
	v_mul_f64 v[70:71], v[188:189], v[70:71]
	s_waitcnt vmcnt(2)
	v_mul_f64 v[228:229], v[194:195], v[74:75]
	v_mul_f64 v[74:75], v[192:193], v[74:75]
	;; [unrolled: 3-line block ×4, first 2 shown]
	v_fma_f64 v[138:139], v[50:51], v[139:140], -v[208:209]
	v_fma_f64 v[28:29], v[50:51], v[141:142], v[28:29]
	v_fma_f64 v[50:51], v[34:35], v[130:131], -v[218:219]
	v_fma_f64 v[120:121], v[38:39], v[143:144], -v[120:121]
	;; [unrolled: 1-line block ×3, first 2 shown]
	v_fma_f64 v[24:25], v[38:39], v[145:146], v[24:25]
	v_fma_f64 v[38:39], v[42:43], v[153:154], v[62:63]
	;; [unrolled: 1-line block ×3, first 2 shown]
	v_fma_f64 v[42:43], v[44:45], v[164:165], -v[72:73]
	v_fma_f64 v[44:45], v[44:45], v[166:167], v[78:79]
	v_fma_f64 v[72:73], v[36:37], v[168:169], -v[128:129]
	v_fma_f64 v[78:79], v[40:41], v[172:173], -v[216:217]
	ds_read2_b64 v[58:61], v254 offset0:112 offset1:172
	v_fma_f64 v[36:37], v[36:37], v[170:171], v[76:77]
	v_fma_f64 v[40:41], v[40:41], v[174:175], v[220:221]
	v_fma_f64 v[62:63], v[48:49], v[155:156], -v[86:87]
	v_fma_f64 v[48:49], v[48:49], v[157:158], v[126:127]
	v_fma_f64 v[64:65], v[32:33], v[176:177], -v[224:225]
	v_fma_f64 v[32:33], v[32:33], v[178:179], v[84:85]
	v_add_f64 v[76:77], v[118:119], v[122:123]
	v_add_f64 v[84:85], v[20:21], -v[124:125]
	v_add_f64 v[126:127], v[20:21], v[124:125]
	v_add_f64 v[128:129], v[16:17], v[20:21]
	v_fma_f64 v[20:21], v[14:15], v[180:181], -v[226:227]
	v_fma_f64 v[132:133], v[30:31], v[184:185], -v[147:148]
	v_fma_f64 v[14:15], v[14:15], v[182:183], v[82:83]
	v_fma_f64 v[30:31], v[30:31], v[186:187], v[149:150]
	v_fma_f64 v[82:83], v[18:19], v[196:197], -v[230:231]
	v_fma_f64 v[140:141], v[22:23], v[188:189], -v[210:211]
	;; [unrolled: 1-line block ×3, first 2 shown]
	v_fma_f64 v[22:23], v[22:23], v[190:191], v[70:71]
	v_fma_f64 v[26:27], v[26:27], v[194:195], v[74:75]
	;; [unrolled: 1-line block ×3, first 2 shown]
	v_fma_f64 v[66:67], v[12:13], v[200:201], -v[234:235]
	v_fma_f64 v[12:13], v[12:13], v[202:203], v[80:81]
	v_add_f64 v[70:71], v[134:135], -v[88:89]
	v_add_f64 v[74:75], v[232:233], v[90:91]
	s_waitcnt lgkmcnt(0)
	v_add_f64 v[80:81], v[232:233], v[60:61]
	v_add_f64 v[144:145], v[116:117], v[214:215]
	;; [unrolled: 1-line block ×7, first 2 shown]
	v_add_f64 v[164:165], v[92:93], -v[238:239]
	v_add_f64 v[168:169], v[248:249], v[100:101]
	v_add_f64 v[174:175], v[212:213], v[102:103]
	;; [unrolled: 1-line block ×6, first 2 shown]
	v_add_f64 v[190:191], v[24:25], -v[38:39]
	v_add_f64 v[194:195], v[24:25], v[38:39]
	v_add_f64 v[24:25], v[34:35], v[24:25]
	;; [unrolled: 1-line block ×4, first 2 shown]
	v_add_f64 v[154:155], v[214:215], -v[106:107]
	v_add_f64 v[196:197], v[46:47], v[206:207]
	v_add_f64 v[214:215], v[36:37], v[40:41]
	v_add_f64 v[86:87], v[118:119], -v[122:123]
	v_add_f64 v[118:119], v[68:69], v[118:119]
	v_add_f64 v[148:149], v[232:233], -v[90:91]
	v_add_f64 v[156:157], v[246:247], -v[104:105]
	v_add_f64 v[166:167], v[94:95], v[240:241]
	v_add_f64 v[170:171], v[212:213], -v[102:103]
	v_add_f64 v[172:173], v[248:249], -v[100:101]
	v_add_f64 v[176:177], v[94:95], v[58:59]
	v_add_f64 v[178:179], v[52:53], v[212:213]
	v_add_f64 v[94:95], v[94:95], -v[240:241]
	v_add_f64 v[184:185], v[98:99], -v[138:139]
	v_add_f64 v[186:187], v[46:47], v[28:29]
	v_add_f64 v[192:193], v[120:121], -v[130:131]
	v_add_f64 v[46:47], v[46:47], -v[28:29]
	v_add_f64 v[98:99], v[6:7], v[98:99]
	v_add_f64 v[120:121], v[50:51], v[120:121]
	v_add_f64 v[200:201], v[42:43], -v[62:63]
	v_add_f64 v[210:211], v[36:37], -v[40:41]
	;; [unrolled: 1-line block ×3, first 2 shown]
	v_add_f64 v[36:37], v[32:33], v[36:37]
	v_add_f64 v[218:219], v[42:43], v[62:63]
	;; [unrolled: 1-line block ×4, first 2 shown]
	v_fma_f64 v[68:69], v[76:77], -0.5, v[68:69]
	v_fma_f64 v[16:17], v[126:127], -0.5, v[16:17]
	v_add_f64 v[76:77], v[20:21], -v[132:133]
	v_add_f64 v[126:127], v[14:15], v[30:31]
	v_add_f64 v[220:221], v[140:141], v[142:143]
	;; [unrolled: 1-line block ×4, first 2 shown]
	v_add_f64 v[232:233], v[14:15], -v[30:31]
	v_add_f64 v[234:235], v[2:3], v[20:21]
	v_add_f64 v[236:237], v[66:67], -v[110:111]
	v_add_f64 v[14:15], v[12:13], v[112:113]
	v_add_f64 v[242:243], v[12:13], v[54:55]
	;; [unrolled: 1-line block ×3, first 2 shown]
	v_add_f64 v[244:245], v[12:13], -v[112:113]
	v_add_f64 v[246:247], v[0:1], v[66:67]
	v_fma_f64 v[12:13], v[74:75], -0.5, v[60:61]
	v_add_f64 v[60:61], v[90:91], v[80:81]
	v_add_f64 v[66:67], v[144:145], v[106:107]
	;; [unrolled: 1-line block ×4, first 2 shown]
	v_fma_f64 v[88:89], v[152:153], -0.5, v[114:115]
	v_fma_f64 v[90:91], v[158:159], -0.5, v[116:117]
	;; [unrolled: 1-line block ×5, first 2 shown]
	v_add_f64 v[92:93], v[92:93], v[238:239]
	v_add_f64 v[100:101], v[182:183], v[100:101]
	v_fma_f64 v[50:51], v[188:189], -0.5, v[50:51]
	v_fma_f64 v[34:35], v[194:195], -0.5, v[34:35]
	v_add_f64 v[24:25], v[24:25], v[38:39]
	v_fma_f64 v[38:39], v[198:199], -0.5, v[6:7]
	v_fma_f64 v[64:65], v[208:209], -0.5, v[64:65]
	v_add_f64 v[216:217], v[44:45], v[204:205]
	v_add_f64 v[226:227], v[22:23], v[26:27]
	v_add_f64 v[222:223], v[22:23], -v[26:27]
	v_add_f64 v[22:23], v[18:19], v[22:23]
	v_add_f64 v[28:29], v[28:29], v[196:197]
	v_fma_f64 v[32:33], v[214:215], -0.5, v[32:33]
	v_add_f64 v[202:203], v[44:45], v[48:49]
	v_add_f64 v[44:45], v[44:45], -v[48:49]
	v_add_f64 v[224:225], v[140:141], -v[142:143]
	v_add_f64 v[140:141], v[82:83], v[140:141]
	v_fma_f64 v[10:11], v[146:147], -0.5, v[10:11]
	v_fma_f64 v[58:59], v[166:167], -0.5, v[58:59]
	v_add_f64 v[104:105], v[240:241], v[176:177]
	v_add_f64 v[102:103], v[178:179], v[102:103]
	v_fma_f64 v[106:107], v[186:187], -0.5, v[206:207]
	v_add_f64 v[98:99], v[98:99], v[138:139]
	v_add_f64 v[114:115], v[120:121], v[130:131]
	;; [unrolled: 1-line block ×3, first 2 shown]
	v_fma_f64 v[36:37], v[218:219], -0.5, v[4:5]
	v_add_f64 v[134:135], v[42:43], v[62:63]
	v_add_f64 v[138:139], v[72:73], v[78:79]
	v_fma_f64 v[144:145], v[84:85], s[4:5], v[68:69]
	v_fma_f64 v[146:147], v[86:87], s[0:1], v[16:17]
	;; [unrolled: 1-line block ×4, first 2 shown]
	v_fma_f64 v[40:41], v[126:127], -0.5, v[56:57]
	v_fma_f64 v[42:43], v[220:221], -0.5, v[82:83]
	v_add_f64 v[126:127], v[30:31], v[228:229]
	v_fma_f64 v[84:85], v[230:231], -0.5, v[2:3]
	v_fma_f64 v[166:167], v[14:15], -0.5, v[54:55]
	;; [unrolled: 1-line block ×3, first 2 shown]
	v_fma_f64 v[54:55], v[70:71], s[0:1], v[12:13]
	v_fma_f64 v[56:57], v[70:71], s[4:5], v[12:13]
	v_add_f64 v[2:3], v[60:61], -v[66:67]
	v_add_f64 v[0:1], v[74:75], -v[80:81]
	v_add_f64 v[6:7], v[60:61], v[66:67]
	v_add_f64 v[4:5], v[74:75], v[80:81]
	v_fma_f64 v[30:31], v[154:155], s[4:5], v[88:89]
	v_fma_f64 v[60:61], v[156:157], s[0:1], v[90:91]
	;; [unrolled: 1-line block ×10, first 2 shown]
	v_add_f64 v[8:9], v[92:93], -v[100:101]
	v_add_f64 v[12:13], v[92:93], v[100:101]
	v_fma_f64 v[90:91], v[190:191], s[4:5], v[50:51]
	v_fma_f64 v[92:93], v[192:193], s[0:1], v[34:35]
	;; [unrolled: 1-line block ×6, first 2 shown]
	v_add_f64 v[120:121], v[48:49], v[216:217]
	v_fma_f64 v[48:49], v[226:227], -0.5, v[18:19]
	v_fma_f64 v[34:35], v[192:193], s[4:5], v[34:35]
	v_add_f64 v[158:159], v[22:23], v[26:27]
	v_add_f64 v[18:19], v[28:29], -v[24:25]
	v_add_f64 v[22:23], v[28:29], v[24:25]
	v_fma_f64 v[28:29], v[210:211], s[4:5], v[64:65]
	v_fma_f64 v[38:39], v[212:213], s[0:1], v[32:33]
	v_fma_f64 v[116:117], v[202:203], -0.5, v[204:205]
	v_fma_f64 v[62:63], v[148:149], s[4:5], v[10:11]
	v_fma_f64 v[68:69], v[148:149], s[0:1], v[10:11]
	;; [unrolled: 1-line block ×4, first 2 shown]
	v_add_f64 v[10:11], v[104:105], -v[102:103]
	v_add_f64 v[14:15], v[104:105], v[102:103]
	v_fma_f64 v[88:89], v[184:185], s[0:1], v[106:107]
	v_fma_f64 v[94:95], v[184:185], s[4:5], v[106:107]
	;; [unrolled: 1-line block ×7, first 2 shown]
	v_mul_f64 v[44:45], v[60:61], -0.5
	v_mul_f64 v[64:65], v[70:71], s[4:5]
	v_mul_f64 v[156:157], v[30:31], -0.5
	v_mul_f64 v[164:165], v[66:67], s[0:1]
	v_mul_f64 v[174:175], v[78:79], -0.5
	v_mul_f64 v[176:177], v[80:81], s[4:5]
	v_mul_f64 v[178:179], v[74:75], -0.5
	v_mul_f64 v[180:181], v[52:53], s[0:1]
	v_mul_f64 v[182:183], v[92:93], -0.5
	v_mul_f64 v[184:185], v[50:51], s[4:5]
	v_mul_f64 v[186:187], v[90:91], -0.5
	v_mul_f64 v[192:193], v[46:47], s[4:5]
	v_fma_f64 v[36:37], v[224:225], s[0:1], v[48:49]
	v_mul_f64 v[188:189], v[34:35], s[0:1]
	v_mul_f64 v[190:191], v[38:39], -0.5
	v_mul_f64 v[194:195], v[28:29], -0.5
	v_fma_f64 v[48:49], v[224:225], s[4:5], v[48:49]
	v_add_f64 v[16:17], v[98:99], -v[114:115]
	v_add_f64 v[20:21], v[98:99], v[114:115]
	v_fma_f64 v[102:103], v[200:201], s[4:5], v[116:117]
	v_mul_f64 v[114:115], v[146:147], -0.5
	v_mul_f64 v[170:171], v[150:151], s[0:1]
	v_fma_f64 v[172:173], v[76:77], s[0:1], v[40:41]
	v_mul_f64 v[202:203], v[42:43], -0.5
	v_fma_f64 v[44:45], v[30:31], s[4:5], v[44:45]
	v_fma_f64 v[64:65], v[66:67], 0.5, v[64:65]
	v_fma_f64 v[60:61], v[60:61], s[0:1], v[156:157]
	v_fma_f64 v[66:67], v[70:71], 0.5, v[164:165]
	v_fma_f64 v[156:157], v[76:77], s[4:5], v[40:41]
	v_fma_f64 v[70:71], v[74:75], s[4:5], v[174:175]
	v_fma_f64 v[52:53], v[52:53], 0.5, v[176:177]
	v_fma_f64 v[74:75], v[78:79], s[0:1], v[178:179]
	v_fma_f64 v[76:77], v[80:81], 0.5, v[180:181]
	;; [unrolled: 2-line block ×4, first 2 shown]
	v_fma_f64 v[98:99], v[200:201], s[0:1], v[116:117]
	v_mul_f64 v[116:117], v[152:153], s[4:5]
	v_mul_f64 v[196:197], v[32:33], s[0:1]
	v_mul_f64 v[198:199], v[36:37], -0.5
	v_fma_f64 v[92:93], v[50:51], 0.5, v[188:189]
	v_mul_f64 v[148:149], v[144:145], -0.5
	v_mul_f64 v[200:201], v[154:155], s[4:5]
	v_fma_f64 v[174:175], v[28:29], s[4:5], v[190:191]
	v_fma_f64 v[178:179], v[38:39], s[0:1], v[194:195]
	v_mul_f64 v[204:205], v[48:49], s[0:1]
	v_add_f64 v[26:27], v[120:121], -v[130:131]
	v_fma_f64 v[186:187], v[36:37], s[0:1], v[202:203]
	v_add_f64 v[30:31], v[54:55], -v[44:45]
	v_add_f64 v[28:29], v[62:63], -v[60:61]
	;; [unrolled: 1-line block ×3, first 2 shown]
	v_add_f64 v[38:39], v[54:55], v[44:45]
	v_add_f64 v[36:37], v[62:63], v[60:61]
	;; [unrolled: 1-line block ×3, first 2 shown]
	v_add_f64 v[50:51], v[58:59], -v[52:53]
	v_add_f64 v[44:45], v[82:83], -v[74:75]
	v_add_f64 v[58:59], v[58:59], v[52:53]
	v_add_f64 v[52:53], v[82:83], v[74:75]
	v_add_f64 v[66:67], v[94:95], -v[80:81]
	v_add_f64 v[60:61], v[96:97], -v[90:91]
	v_add_f64 v[74:75], v[94:95], v[80:81]
	v_add_f64 v[68:69], v[96:97], v[90:91]
	v_add_f64 v[82:83], v[102:103], -v[176:177]
	v_add_f64 v[90:91], v[102:103], v[176:177]
	v_add_f64 v[140:141], v[140:141], v[142:143]
	;; [unrolled: 1-line block ×3, first 2 shown]
	v_fma_f64 v[130:131], v[236:237], s[0:1], v[166:167]
	v_fma_f64 v[142:143], v[144:145], s[4:5], v[114:115]
	;; [unrolled: 1-line block ×3, first 2 shown]
	v_add_f64 v[166:167], v[112:113], v[242:243]
	v_add_f64 v[176:177], v[128:129], v[124:125]
	v_fma_f64 v[152:153], v[152:153], 0.5, v[170:171]
	v_add_f64 v[170:171], v[246:247], v[110:111]
	v_add_f64 v[122:123], v[118:119], v[122:123]
	v_add_f64 v[24:25], v[134:135], -v[138:139]
	v_fma_f64 v[180:181], v[46:47], 0.5, v[196:197]
	v_fma_f64 v[182:183], v[42:43], s[4:5], v[198:199]
	v_add_f64 v[34:35], v[56:57], -v[64:65]
	v_add_f64 v[42:43], v[56:57], v[64:65]
	v_add_f64 v[46:47], v[72:73], -v[70:71]
	v_add_f64 v[54:55], v[72:73], v[70:71]
	v_add_f64 v[64:65], v[100:101], -v[92:93]
	v_add_f64 v[72:73], v[100:101], v[92:93]
	v_add_f64 v[132:133], v[234:235], v[132:133]
	v_fma_f64 v[150:151], v[150:151], 0.5, v[116:117]
	v_add_f64 v[92:93], v[134:135], v[138:139]
	v_fma_f64 v[134:135], v[244:245], s[4:5], v[168:169]
	v_fma_f64 v[168:169], v[244:245], s[0:1], v[168:169]
	;; [unrolled: 1-line block ×3, first 2 shown]
	v_fma_f64 v[184:185], v[48:49], 0.5, v[200:201]
	v_add_f64 v[48:49], v[86:87], -v[76:77]
	v_add_f64 v[56:57], v[86:87], v[76:77]
	v_add_f64 v[62:63], v[88:89], -v[78:79]
	v_add_f64 v[70:71], v[88:89], v[78:79]
	v_add_f64 v[78:79], v[98:99], -v[174:175]
	v_add_f64 v[76:77], v[104:105], -v[178:179]
	v_add_f64 v[86:87], v[98:99], v[174:175]
	v_fma_f64 v[174:175], v[232:233], s[0:1], v[84:85]
	v_add_f64 v[84:85], v[104:105], v[178:179]
	v_fma_f64 v[178:179], v[146:147], s[0:1], v[148:149]
	v_fma_f64 v[154:155], v[154:155], 0.5, v[204:205]
	v_add_f64 v[148:149], v[166:167], v[176:177]
	v_add_f64 v[146:147], v[170:171], v[122:123]
	v_add_f64 v[80:81], v[106:107], -v[180:181]
	v_add_f64 v[88:89], v[106:107], v[180:181]
	v_add_f64 v[106:107], v[126:127], -v[158:159]
	v_add_f64 v[104:105], v[132:133], -v[140:141]
	v_add_f64 v[120:121], v[126:127], v[158:159]
	v_add_f64 v[118:119], v[132:133], v[140:141]
	v_add_f64 v[124:125], v[130:131], -v[142:143]
	v_add_f64 v[128:129], v[144:145], -v[150:151]
	v_add_f64 v[140:141], v[130:131], v[142:143]
	v_add_f64 v[144:145], v[144:145], v[150:151]
	;; [unrolled: 1-line block ×3, first 2 shown]
	v_lshlrev_b64 v[126:127], 4, v[160:161]
	v_add_co_u32 v158, vcc_lo, s2, v162
	v_add_f64 v[132:133], v[166:167], -v[176:177]
	v_add_f64 v[130:131], v[170:171], -v[122:123]
	v_add_co_ci_u32_e32 v159, vcc_lo, s3, v163, vcc_lo
	v_add_f64 v[138:139], v[134:135], v[178:179]
	v_add_co_u32 v150, vcc_lo, v158, v126
	v_add_co_ci_u32_e32 v151, vcc_lo, v159, v127, vcc_lo
	v_add_f64 v[126:127], v[168:169], -v[152:153]
	v_add_co_u32 v152, vcc_lo, 0x1000, v150
	v_add_f64 v[122:123], v[134:135], -v[178:179]
	v_add_co_ci_u32_e32 v153, vcc_lo, 0, v151, vcc_lo
	v_add_f64 v[100:101], v[174:175], -v[154:155]
	v_add_f64 v[116:117], v[156:157], v[184:185]
	v_add_f64 v[114:115], v[174:175], v[154:155]
	v_add_co_u32 v154, vcc_lo, 0x2800, v150
	v_add_f64 v[112:113], v[172:173], v[182:183]
	v_add_f64 v[110:111], v[164:165], v[186:187]
	v_add_co_ci_u32_e32 v155, vcc_lo, 0, v151, vcc_lo
	v_add_f64 v[102:103], v[156:157], -v[184:185]
	v_add_co_u32 v156, vcc_lo, 0x4000, v150
	v_add_f64 v[98:99], v[172:173], -v[182:183]
	v_add_f64 v[96:97], v[164:165], -v[186:187]
	v_add_co_ci_u32_e32 v157, vcc_lo, 0, v151, vcc_lo
	global_store_dwordx4 v[150:151], v[146:149], off
	global_store_dwordx4 v[152:153], v[142:145], off offset:1664
	global_store_dwordx4 v[154:155], v[138:141], off offset:1280
	;; [unrolled: 1-line block ×3, first 2 shown]
	v_add_co_u32 v130, vcc_lo, 0x5800, v150
	v_add_co_ci_u32_e32 v131, vcc_lo, 0, v151, vcc_lo
	v_add_co_u32 v132, vcc_lo, 0x7000, v150
	v_add_co_ci_u32_e32 v133, vcc_lo, 0, v151, vcc_lo
	v_add_co_u32 v134, vcc_lo, 0x1800, v150
	v_add_co_ci_u32_e32 v135, vcc_lo, 0, v151, vcc_lo
	v_add_co_u32 v138, vcc_lo, 0x3000, v150
	v_add_co_ci_u32_e32 v139, vcc_lo, 0, v151, vcc_lo
	global_store_dwordx4 v[130:131], v[126:129], off offset:512
	global_store_dwordx4 v[132:133], v[122:125], off offset:128
	;; [unrolled: 1-line block ×9, first 2 shown]
	v_add_co_u32 v92, vcc_lo, 0x4800, v150
	v_add_co_ci_u32_e32 v93, vcc_lo, 0, v151, vcc_lo
	v_add_co_u32 v94, vcc_lo, 0x6000, v150
	v_add_co_ci_u32_e32 v95, vcc_lo, 0, v151, vcc_lo
	global_store_dwordx4 v[134:135], v[88:91], off offset:1536
	global_store_dwordx4 v[138:139], v[84:87], off offset:1152
	;; [unrolled: 1-line block ×4, first 2 shown]
	v_lshrrev_b32_e32 v26, 3, v136
	v_lshlrev_b64 v[88:89], 4, v[108:109]
	v_mul_hi_u32 v82, 0x16c16c17, v26
	v_add_co_u32 v24, vcc_lo, v158, v88
	v_add_co_ci_u32_e32 v25, vcc_lo, v159, v89, vcc_lo
	v_add_co_u32 v26, vcc_lo, 0x800, v150
	v_lshrrev_b32_e32 v84, 2, v82
	v_add_co_ci_u32_e32 v27, vcc_lo, 0, v151, vcc_lo
	v_add_co_u32 v80, vcc_lo, 0x2000, v150
	v_add_co_ci_u32_e32 v81, vcc_lo, 0, v151, vcc_lo
	v_add_co_u32 v82, vcc_lo, 0x3800, v150
	v_mad_u32_u24 v108, 0x708, v84, v136
	v_add_co_ci_u32_e32 v83, vcc_lo, 0, v151, vcc_lo
	global_store_dwordx4 v[24:25], v[76:79], off
	global_store_dwordx4 v[26:27], v[20:23], off offset:832
	global_store_dwordx4 v[80:81], v[72:75], off offset:448
	global_store_dwordx4 v[82:83], v[68:71], off offset:64
	global_store_dwordx4 v[92:93], v[16:19], off offset:1728
	v_lshlrev_b64 v[16:17], 4, v[108:109]
	v_add_co_u32 v18, vcc_lo, 0x7800, v150
	v_lshrrev_b32_e32 v22, 3, v137
	v_add_co_ci_u32_e32 v19, vcc_lo, 0, v151, vcc_lo
	v_add_co_u32 v16, vcc_lo, v158, v16
	v_add_co_ci_u32_e32 v17, vcc_lo, v159, v17, vcc_lo
	v_mul_hi_u32 v22, 0x16c16c17, v22
	v_add_co_u32 v20, vcc_lo, 0x1000, v16
	v_add_co_ci_u32_e32 v21, vcc_lo, 0, v17, vcc_lo
	global_store_dwordx4 v[94:95], v[64:67], off offset:1344
	global_store_dwordx4 v[18:19], v[60:63], off offset:960
	global_store_dwordx4 v[16:17], v[12:15], off
	global_store_dwordx4 v[20:21], v[56:59], off offset:1664
	v_add_co_u32 v12, vcc_lo, 0x2800, v16
	v_lshrrev_b32_e32 v18, 2, v22
	v_add_co_ci_u32_e32 v13, vcc_lo, 0, v17, vcc_lo
	v_add_co_u32 v14, vcc_lo, 0x4000, v16
	v_mad_u32_u24 v108, 0x708, v18, v137
	v_add_co_ci_u32_e32 v15, vcc_lo, 0, v17, vcc_lo
	v_add_co_u32 v18, vcc_lo, 0x5800, v16
	v_lshlrev_b64 v[20:21], 4, v[108:109]
	v_add_co_ci_u32_e32 v19, vcc_lo, 0, v17, vcc_lo
	v_add_co_u32 v16, vcc_lo, 0x7000, v16
	v_add_co_ci_u32_e32 v17, vcc_lo, 0, v17, vcc_lo
	v_add_co_u32 v20, vcc_lo, v158, v20
	v_add_co_ci_u32_e32 v21, vcc_lo, v159, v21, vcc_lo
	global_store_dwordx4 v[12:13], v[52:55], off offset:1280
	global_store_dwordx4 v[14:15], v[8:11], off offset:896
	;; [unrolled: 1-line block ×4, first 2 shown]
	global_store_dwordx4 v[20:21], v[4:7], off
	v_add_co_u32 v4, vcc_lo, 0x1000, v20
	v_add_co_ci_u32_e32 v5, vcc_lo, 0, v21, vcc_lo
	v_add_co_u32 v6, vcc_lo, 0x2800, v20
	v_add_co_ci_u32_e32 v7, vcc_lo, 0, v21, vcc_lo
	;; [unrolled: 2-line block ×5, first 2 shown]
	global_store_dwordx4 v[4:5], v[40:43], off offset:1664
	global_store_dwordx4 v[6:7], v[36:39], off offset:1280
	;; [unrolled: 1-line block ×5, first 2 shown]
.LBB0_19:
	s_endpgm
	.section	.rodata,"a",@progbits
	.p2align	6, 0x0
	.amdhsa_kernel fft_rtc_fwd_len2160_factors_10_6_6_6_wgs_60_tpt_60_halfLds_dp_ip_CI_unitstride_sbrr_dirReg
		.amdhsa_group_segment_fixed_size 0
		.amdhsa_private_segment_fixed_size 0
		.amdhsa_kernarg_size 88
		.amdhsa_user_sgpr_count 6
		.amdhsa_user_sgpr_private_segment_buffer 1
		.amdhsa_user_sgpr_dispatch_ptr 0
		.amdhsa_user_sgpr_queue_ptr 0
		.amdhsa_user_sgpr_kernarg_segment_ptr 1
		.amdhsa_user_sgpr_dispatch_id 0
		.amdhsa_user_sgpr_flat_scratch_init 0
		.amdhsa_user_sgpr_private_segment_size 0
		.amdhsa_wavefront_size32 1
		.amdhsa_uses_dynamic_stack 0
		.amdhsa_system_sgpr_private_segment_wavefront_offset 0
		.amdhsa_system_sgpr_workgroup_id_x 1
		.amdhsa_system_sgpr_workgroup_id_y 0
		.amdhsa_system_sgpr_workgroup_id_z 0
		.amdhsa_system_sgpr_workgroup_info 0
		.amdhsa_system_vgpr_workitem_id 0
		.amdhsa_next_free_vgpr 255
		.amdhsa_next_free_sgpr 21
		.amdhsa_reserve_vcc 1
		.amdhsa_reserve_flat_scratch 0
		.amdhsa_float_round_mode_32 0
		.amdhsa_float_round_mode_16_64 0
		.amdhsa_float_denorm_mode_32 3
		.amdhsa_float_denorm_mode_16_64 3
		.amdhsa_dx10_clamp 1
		.amdhsa_ieee_mode 1
		.amdhsa_fp16_overflow 0
		.amdhsa_workgroup_processor_mode 1
		.amdhsa_memory_ordered 1
		.amdhsa_forward_progress 0
		.amdhsa_shared_vgpr_count 0
		.amdhsa_exception_fp_ieee_invalid_op 0
		.amdhsa_exception_fp_denorm_src 0
		.amdhsa_exception_fp_ieee_div_zero 0
		.amdhsa_exception_fp_ieee_overflow 0
		.amdhsa_exception_fp_ieee_underflow 0
		.amdhsa_exception_fp_ieee_inexact 0
		.amdhsa_exception_int_div_zero 0
	.end_amdhsa_kernel
	.text
.Lfunc_end0:
	.size	fft_rtc_fwd_len2160_factors_10_6_6_6_wgs_60_tpt_60_halfLds_dp_ip_CI_unitstride_sbrr_dirReg, .Lfunc_end0-fft_rtc_fwd_len2160_factors_10_6_6_6_wgs_60_tpt_60_halfLds_dp_ip_CI_unitstride_sbrr_dirReg
                                        ; -- End function
	.section	.AMDGPU.csdata,"",@progbits
; Kernel info:
; codeLenInByte = 21996
; NumSgprs: 23
; NumVgprs: 255
; ScratchSize: 0
; MemoryBound: 1
; FloatMode: 240
; IeeeMode: 1
; LDSByteSize: 0 bytes/workgroup (compile time only)
; SGPRBlocks: 2
; VGPRBlocks: 31
; NumSGPRsForWavesPerEU: 23
; NumVGPRsForWavesPerEU: 255
; Occupancy: 4
; WaveLimiterHint : 1
; COMPUTE_PGM_RSRC2:SCRATCH_EN: 0
; COMPUTE_PGM_RSRC2:USER_SGPR: 6
; COMPUTE_PGM_RSRC2:TRAP_HANDLER: 0
; COMPUTE_PGM_RSRC2:TGID_X_EN: 1
; COMPUTE_PGM_RSRC2:TGID_Y_EN: 0
; COMPUTE_PGM_RSRC2:TGID_Z_EN: 0
; COMPUTE_PGM_RSRC2:TIDIG_COMP_CNT: 0
	.text
	.p2alignl 6, 3214868480
	.fill 48, 4, 3214868480
	.type	__hip_cuid_d35575af4f51c123,@object ; @__hip_cuid_d35575af4f51c123
	.section	.bss,"aw",@nobits
	.globl	__hip_cuid_d35575af4f51c123
__hip_cuid_d35575af4f51c123:
	.byte	0                               ; 0x0
	.size	__hip_cuid_d35575af4f51c123, 1

	.ident	"AMD clang version 19.0.0git (https://github.com/RadeonOpenCompute/llvm-project roc-6.4.0 25133 c7fe45cf4b819c5991fe208aaa96edf142730f1d)"
	.section	".note.GNU-stack","",@progbits
	.addrsig
	.addrsig_sym __hip_cuid_d35575af4f51c123
	.amdgpu_metadata
---
amdhsa.kernels:
  - .args:
      - .actual_access:  read_only
        .address_space:  global
        .offset:         0
        .size:           8
        .value_kind:     global_buffer
      - .offset:         8
        .size:           8
        .value_kind:     by_value
      - .actual_access:  read_only
        .address_space:  global
        .offset:         16
        .size:           8
        .value_kind:     global_buffer
      - .actual_access:  read_only
        .address_space:  global
        .offset:         24
        .size:           8
        .value_kind:     global_buffer
      - .offset:         32
        .size:           8
        .value_kind:     by_value
      - .actual_access:  read_only
        .address_space:  global
        .offset:         40
        .size:           8
        .value_kind:     global_buffer
      - .actual_access:  read_only
        .address_space:  global
        .offset:         48
        .size:           8
        .value_kind:     global_buffer
      - .offset:         56
        .size:           4
        .value_kind:     by_value
      - .actual_access:  read_only
        .address_space:  global
        .offset:         64
        .size:           8
        .value_kind:     global_buffer
      - .actual_access:  read_only
        .address_space:  global
        .offset:         72
        .size:           8
        .value_kind:     global_buffer
      - .address_space:  global
        .offset:         80
        .size:           8
        .value_kind:     global_buffer
    .group_segment_fixed_size: 0
    .kernarg_segment_align: 8
    .kernarg_segment_size: 88
    .language:       OpenCL C
    .language_version:
      - 2
      - 0
    .max_flat_workgroup_size: 60
    .name:           fft_rtc_fwd_len2160_factors_10_6_6_6_wgs_60_tpt_60_halfLds_dp_ip_CI_unitstride_sbrr_dirReg
    .private_segment_fixed_size: 0
    .sgpr_count:     23
    .sgpr_spill_count: 0
    .symbol:         fft_rtc_fwd_len2160_factors_10_6_6_6_wgs_60_tpt_60_halfLds_dp_ip_CI_unitstride_sbrr_dirReg.kd
    .uniform_work_group_size: 1
    .uses_dynamic_stack: false
    .vgpr_count:     255
    .vgpr_spill_count: 0
    .wavefront_size: 32
    .workgroup_processor_mode: 1
amdhsa.target:   amdgcn-amd-amdhsa--gfx1030
amdhsa.version:
  - 1
  - 2
...

	.end_amdgpu_metadata
